;; amdgpu-corpus repo=ROCm/rocFFT kind=compiled arch=gfx906 opt=O3
	.text
	.amdgcn_target "amdgcn-amd-amdhsa--gfx906"
	.amdhsa_code_object_version 6
	.protected	bluestein_single_back_len44_dim1_half_op_CI_CI ; -- Begin function bluestein_single_back_len44_dim1_half_op_CI_CI
	.globl	bluestein_single_back_len44_dim1_half_op_CI_CI
	.p2align	8
	.type	bluestein_single_back_len44_dim1_half_op_CI_CI,@function
bluestein_single_back_len44_dim1_half_op_CI_CI: ; @bluestein_single_back_len44_dim1_half_op_CI_CI
; %bb.0:
	s_load_dwordx4 s[16:19], s[4:5], 0x28
	v_lshrrev_b32_e32 v1, 2, v0
	v_lshl_or_b32 v9, s6, 4, v1
	v_mov_b32_e32 v10, 0
	s_waitcnt lgkmcnt(0)
	v_cmp_gt_u64_e32 vcc, s[16:17], v[9:10]
	s_and_saveexec_b64 s[0:1], vcc
	s_cbranch_execz .LBB0_10
; %bb.1:
	s_load_dwordx4 s[0:3], s[4:5], 0x18
	s_load_dwordx4 s[8:11], s[4:5], 0x0
	v_and_b32_e32 v30, 3, v0
	v_lshlrev_b32_e32 v35, 2, v30
	v_mul_u32_u24_e32 v36, 44, v1
	s_waitcnt lgkmcnt(0)
	s_load_dwordx4 s[12:15], s[0:1], 0x0
	global_load_dword v32, v35, s[8:9]
	v_lshl_or_b32 v24, v36, 2, v35
	s_mov_b32 s16, 0xbb47
	s_movk_i32 s17, 0x3beb
	s_waitcnt lgkmcnt(0)
	v_mad_u64_u32 v[2:3], s[0:1], s14, v9, 0
	v_mad_u64_u32 v[4:5], s[0:1], s12, v30, 0
	v_mov_b32_e32 v0, v3
	s_mov_b32 s14, 0xba0c
	v_mov_b32_e32 v3, v5
	v_mad_u64_u32 v[5:6], s[0:1], s15, v9, v[0:1]
	v_mad_u64_u32 v[6:7], s[0:1], s13, v30, v[3:4]
	v_mov_b32_e32 v3, v5
	v_lshlrev_b64 v[2:3], 2, v[2:3]
	v_mov_b32_e32 v5, v6
	v_mov_b32_e32 v0, s19
	v_lshlrev_b64 v[4:5], 2, v[4:5]
	v_add_co_u32_e32 v2, vcc, s18, v2
	v_addc_co_u32_e32 v0, vcc, v0, v3, vcc
	v_add_co_u32_e32 v2, vcc, v2, v4
	v_addc_co_u32_e32 v3, vcc, v0, v5, vcc
	global_load_dword v0, v[2:3], off
	s_lshl_b64 s[0:1], s[12:13], 4
	v_mov_b32_e32 v4, s1
	v_add_co_u32_e32 v2, vcc, s0, v2
	v_addc_co_u32_e32 v3, vcc, v3, v4, vcc
	global_load_dword v5, v[2:3], off
	global_load_dword v31, v35, s[8:9] offset:16
	v_add_co_u32_e32 v2, vcc, s0, v2
	v_addc_co_u32_e32 v3, vcc, v3, v4, vcc
	global_load_dword v6, v[2:3], off
	global_load_dword v29, v35, s[8:9] offset:32
	;; [unrolled: 4-line block ×10, first 2 shown]
	v_or_b32_e32 v1, v36, v30
	v_lshlrev_b32_e32 v33, 2, v1
	s_load_dwordx2 s[12:13], s[4:5], 0x38
	s_mov_b32 s19, 0xb853
	s_load_dwordx4 s[4:7], s[2:3], 0x0
	s_movk_i32 s1, 0x3abb
	s_mov_b32 s0, 0x3abb36a6
	s_mov_b32 s18, 0xffff
	s_movk_i32 s3, 0x36a6
	s_mov_b32 s2, 0xb08e
	s_mov_b32 s15, 0xb93d
	;; [unrolled: 1-line block ×3, first 2 shown]
	v_mov_b32_e32 v2, s9
	s_waitcnt vmcnt(20)
	v_lshrrev_b32_e32 v1, 16, v0
	v_mul_f16_sdwa v3, v32, v0 dst_sel:DWORD dst_unused:UNUSED_PAD src0_sel:WORD_1 src1_sel:DWORD
	v_mul_f16_sdwa v15, v32, v1 dst_sel:DWORD dst_unused:UNUSED_PAD src0_sel:WORD_1 src1_sel:DWORD
	v_fma_f16 v1, v32, v1, -v3
	v_fma_f16 v0, v32, v0, v15
	v_pack_b32_f16 v0, v0, v1
	s_waitcnt vmcnt(19)
	v_lshrrev_b32_e32 v3, 16, v5
	s_waitcnt vmcnt(18)
	v_mul_f16_sdwa v15, v31, v3 dst_sel:DWORD dst_unused:UNUSED_PAD src0_sel:WORD_1 src1_sel:DWORD
	ds_write_b32 v33, v0
	v_mul_f16_sdwa v0, v31, v5 dst_sel:DWORD dst_unused:UNUSED_PAD src0_sel:WORD_1 src1_sel:DWORD
	v_fma_f16 v1, v31, v5, v15
	v_fma_f16 v0, v31, v3, -v0
	v_pack_b32_f16 v0, v1, v0
	s_waitcnt vmcnt(17)
	v_lshrrev_b32_e32 v1, 16, v6
	s_waitcnt vmcnt(16)
	v_mul_f16_sdwa v3, v29, v1 dst_sel:DWORD dst_unused:UNUSED_PAD src0_sel:WORD_1 src1_sel:DWORD
	v_mul_f16_sdwa v5, v29, v6 dst_sel:DWORD dst_unused:UNUSED_PAD src0_sel:WORD_1 src1_sel:DWORD
	v_fma_f16 v3, v29, v6, v3
	v_fma_f16 v1, v29, v1, -v5
	v_pack_b32_f16 v1, v3, v1
	ds_write2_b32 v24, v0, v1 offset0:4 offset1:8
	s_waitcnt vmcnt(15)
	v_lshrrev_b32_e32 v0, 16, v7
	s_waitcnt vmcnt(14)
	v_mul_f16_sdwa v1, v28, v0 dst_sel:DWORD dst_unused:UNUSED_PAD src0_sel:WORD_1 src1_sel:DWORD
	v_mul_f16_sdwa v3, v28, v7 dst_sel:DWORD dst_unused:UNUSED_PAD src0_sel:WORD_1 src1_sel:DWORD
	v_fma_f16 v1, v28, v7, v1
	v_fma_f16 v0, v28, v0, -v3
	v_pack_b32_f16 v0, v1, v0
	s_waitcnt vmcnt(13)
	v_lshrrev_b32_e32 v1, 16, v8
	s_waitcnt vmcnt(12)
	v_mul_f16_sdwa v3, v27, v1 dst_sel:DWORD dst_unused:UNUSED_PAD src0_sel:WORD_1 src1_sel:DWORD
	v_mul_f16_sdwa v5, v27, v8 dst_sel:DWORD dst_unused:UNUSED_PAD src0_sel:WORD_1 src1_sel:DWORD
	v_fma_f16 v3, v27, v8, v3
	v_fma_f16 v1, v27, v1, -v5
	v_pack_b32_f16 v1, v3, v1
	ds_write2_b32 v24, v0, v1 offset0:12 offset1:16
	s_waitcnt vmcnt(11)
	v_lshrrev_b32_e32 v0, 16, v10
	s_waitcnt vmcnt(10)
	v_mul_f16_sdwa v1, v26, v0 dst_sel:DWORD dst_unused:UNUSED_PAD src0_sel:WORD_1 src1_sel:DWORD
	;; [unrolled: 17-line block ×4, first 2 shown]
	v_mul_f16_sdwa v3, v21, v14 dst_sel:DWORD dst_unused:UNUSED_PAD src0_sel:WORD_1 src1_sel:DWORD
	v_fma_f16 v1, v21, v14, v1
	v_fma_f16 v0, v21, v0, -v3
	v_pack_b32_f16 v0, v1, v0
	s_waitcnt vmcnt(1)
	v_lshrrev_b32_e32 v1, 16, v4
	s_waitcnt vmcnt(0)
	v_mul_f16_sdwa v3, v20, v1 dst_sel:DWORD dst_unused:UNUSED_PAD src0_sel:WORD_1 src1_sel:DWORD
	v_fma_f16 v3, v20, v4, v3
	v_mul_f16_sdwa v4, v20, v4 dst_sel:DWORD dst_unused:UNUSED_PAD src0_sel:WORD_1 src1_sel:DWORD
	v_fma_f16 v1, v20, v1, -v4
	v_pack_b32_f16 v1, v3, v1
	ds_write2_b32 v24, v0, v1 offset0:36 offset1:40
	v_mul_u32_u24_e32 v0, 11, v30
	s_waitcnt lgkmcnt(0)
	; wave barrier
	s_waitcnt lgkmcnt(0)
	v_add_lshl_u32 v34, v36, v0, 2
	ds_read_b32 v0, v33
	ds_read2_b32 v[4:5], v24 offset0:4 offset1:8
	ds_read2_b32 v[7:8], v24 offset0:12 offset1:16
	;; [unrolled: 1-line block ×5, first 2 shown]
	s_waitcnt lgkmcnt(4)
	v_pk_add_f16 v1, v0, v4
	v_pk_add_f16 v1, v1, v5
	s_waitcnt lgkmcnt(3)
	v_pk_add_f16 v1, v1, v7
	v_pk_add_f16 v1, v1, v8
	;; [unrolled: 3-line block ×5, first 2 shown]
	s_waitcnt lgkmcnt(0)
	; wave barrier
	ds_write_b32 v34, v1
	v_pk_add_f16 v1, v4, v15 neg_lo:[0,1] neg_hi:[0,1]
	v_pk_add_f16 v3, v15, v4
	v_mul_f16_sdwa v4, v1, s19 dst_sel:DWORD dst_unused:UNUSED_PAD src0_sel:WORD_1 src1_sel:DWORD
	v_fma_f16 v6, v3, s1, -v4
	v_add_f16_e32 v15, v0, v6
	v_pk_mul_f16 v6, v3, s0
	s_mov_b32 s0, 0xbb47b853
	v_pk_fma_f16 v17, v1, s0, v6 op_sel:[0,0,1] op_sel_hi:[1,1,0] neg_lo:[1,0,0] neg_hi:[1,0,0]
	v_pk_fma_f16 v18, v1, s0, v6 op_sel:[0,0,1] op_sel_hi:[1,1,0]
	v_bfi_b32 v6, s18, v18, v17
	v_pk_add_f16 v19, v0, v6 op_sel:[1,0] op_sel_hi:[0,1]
	v_lshrrev_b32_e32 v6, 16, v3
	v_mul_f16_e32 v37, 0xbb47, v1
	v_mul_f16_e32 v41, 0xbbeb, v1
	;; [unrolled: 1-line block ×3, first 2 shown]
	v_fma_f16 v38, v6, s3, v37
	v_fma_f16 v37, v6, s3, -v37
	v_fma_f16 v42, v6, s2, v41
	v_fma_f16 v41, v6, s2, -v41
	;; [unrolled: 2-line block ×3, first 2 shown]
	v_add_f16_sdwa v45, v0, v6 dst_sel:DWORD dst_unused:UNUSED_PAD src0_sel:WORD_1 src1_sel:DWORD
	v_pk_add_f16 v6, v14, v5
	v_pk_add_f16 v5, v5, v14 neg_lo:[0,1] neg_hi:[0,1]
	v_fma_f16 v4, v3, s1, v4
	v_mul_f16_sdwa v14, v5, s16 dst_sel:DWORD dst_unused:UNUSED_PAD src0_sel:WORD_1 src1_sel:DWORD
	v_add_f16_e32 v16, v0, v4
	v_fma_f16 v47, v6, s3, -v14
	v_fma_f16 v14, v6, s3, v14
	s_mov_b32 s16, 0x36a6b93d
	v_add_f16_e32 v14, v14, v16
	v_pk_mul_f16 v16, v6, s16
	s_mov_b32 s16, 0xba0cbb47
	v_add_f16_e32 v15, v47, v15
	v_pk_fma_f16 v47, v5, s16, v16 op_sel:[0,0,1] op_sel_hi:[1,1,0] neg_lo:[1,0,0] neg_hi:[1,0,0]
	v_pk_fma_f16 v16, v5, s16, v16 op_sel:[0,0,1] op_sel_hi:[1,1,0]
	v_bfi_b32 v48, s18, v16, v47
	v_alignbit_b32 v4, s0, v0, 16
	s_mov_b32 s0, 0xbbeb
	v_pk_add_f16 v19, v48, v19
	v_lshrrev_b32_e32 v48, 16, v6
	v_mul_f16_e32 v49, 0xba0c, v5
	v_add_f16_sdwa v37, v0, v37 dst_sel:DWORD dst_unused:UNUSED_PAD src0_sel:WORD_1 src1_sel:DWORD
	v_mul_f16_sdwa v39, v1, s0 dst_sel:DWORD dst_unused:UNUSED_PAD src0_sel:WORD_1 src1_sel:DWORD
	v_fma_f16 v50, v48, s15, v49
	v_fma_f16 v49, v48, s15, -v49
	s_movk_i32 s16, 0x3482
	v_add_f16_sdwa v38, v0, v38 dst_sel:DWORD dst_unused:UNUSED_PAD src0_sel:WORD_1 src1_sel:DWORD
	v_fma_f16 v40, v3, s2, -v39
	v_add_f16_e32 v37, v49, v37
	v_mul_f16_sdwa v49, v5, s16 dst_sel:DWORD dst_unused:UNUSED_PAD src0_sel:WORD_1 src1_sel:DWORD
	s_mov_b32 s16, 0xbbad
	v_add_f16_e32 v40, v0, v40
	v_fma_f16 v39, v3, s2, v39
	v_add_f16_e32 v38, v50, v38
	v_fma_f16 v50, v6, s16, -v49
	v_add_f16_e32 v39, v0, v39
	v_add_f16_e32 v40, v50, v40
	v_mul_f16_e32 v50, 0x3482, v5
	v_fma_f16 v49, v6, s16, v49
	v_add_f16_sdwa v41, v0, v41 dst_sel:DWORD dst_unused:UNUSED_PAD src0_sel:WORD_1 src1_sel:DWORD
	v_mul_f16_sdwa v43, v1, s14 dst_sel:DWORD dst_unused:UNUSED_PAD src0_sel:WORD_1 src1_sel:DWORD
	v_add_f16_e32 v39, v49, v39
	v_fma_f16 v49, v48, s16, -v50
	v_fma_f16 v44, v3, s15, -v43
	v_add_f16_e32 v41, v49, v41
	v_mul_f16_sdwa v49, v5, s17 dst_sel:DWORD dst_unused:UNUSED_PAD src0_sel:WORD_1 src1_sel:DWORD
	v_add_f16_e32 v44, v0, v44
	v_fma_f16 v51, v48, s16, v50
	v_fma_f16 v50, v6, s2, -v49
	v_add_f16_sdwa v42, v0, v42 dst_sel:DWORD dst_unused:UNUSED_PAD src0_sel:WORD_1 src1_sel:DWORD
	v_add_f16_e32 v44, v50, v44
	v_mul_f16_e32 v50, 0x3beb, v5
	v_add_f16_e32 v42, v51, v42
	v_fma_f16 v51, v48, s2, v50
	v_fma_f16 v48, v48, s2, -v50
	v_fma_f16 v43, v3, s15, v43
	v_add_f16_e32 v45, v48, v45
	v_pk_add_f16 v48, v13, v7
	v_pk_add_f16 v7, v7, v13 neg_lo:[0,1] neg_hi:[0,1]
	v_add_f16_e32 v43, v0, v43
	v_fma_f16 v49, v6, s2, v49
	v_mul_f16_sdwa v13, v7, s0 dst_sel:DWORD dst_unused:UNUSED_PAD src0_sel:WORD_1 src1_sel:DWORD
	v_add_f16_e32 v43, v49, v43
	v_fma_f16 v49, v48, s2, -v13
	v_fma_f16 v13, v48, s2, v13
	s_mov_b32 s17, 0xb08ebbad
	v_add_f16_e32 v13, v13, v14
	v_pk_mul_f16 v14, v48, s17
	s_mov_b32 s17, 0x3482bbeb
	v_add_f16_e32 v15, v49, v15
	v_pk_fma_f16 v49, v7, s17, v14 op_sel:[0,0,1] op_sel_hi:[1,1,0] neg_lo:[1,0,0] neg_hi:[1,0,0]
	v_pk_fma_f16 v14, v7, s17, v14 op_sel:[0,0,1] op_sel_hi:[1,1,0]
	v_add_f16_sdwa v46, v0, v46 dst_sel:DWORD dst_unused:UNUSED_PAD src0_sel:WORD_1 src1_sel:DWORD
	v_bfi_b32 v50, s18, v14, v49
	v_add_f16_e32 v46, v51, v46
	v_pk_add_f16 v19, v50, v19
	v_lshrrev_b32_e32 v50, 16, v48
	v_mul_f16_e32 v51, 0x3482, v7
	v_fma_f16 v52, v50, s16, v51
	v_fma_f16 v51, v50, s16, -v51
	s_movk_i32 s17, 0x3b47
	v_add_f16_e32 v37, v51, v37
	v_mul_f16_sdwa v51, v7, s17 dst_sel:DWORD dst_unused:UNUSED_PAD src0_sel:WORD_1 src1_sel:DWORD
	v_add_f16_e32 v38, v52, v38
	v_fma_f16 v52, v48, s3, -v51
	v_add_f16_e32 v40, v52, v40
	v_mul_f16_e32 v52, 0x3b47, v7
	v_fma_f16 v51, v48, s3, v51
	v_add_f16_e32 v39, v51, v39
	v_fma_f16 v51, v50, s3, -v52
	v_add_f16_e32 v41, v51, v41
	v_mul_f16_sdwa v51, v7, s19 dst_sel:DWORD dst_unused:UNUSED_PAD src0_sel:WORD_1 src1_sel:DWORD
	v_fma_f16 v53, v50, s3, v52
	v_fma_f16 v52, v48, s1, -v51
	v_add_f16_e32 v44, v52, v44
	v_mul_f16_e32 v52, 0xb853, v7
	v_add_f16_e32 v42, v53, v42
	v_fma_f16 v53, v50, s1, v52
	v_fma_f16 v50, v50, s1, -v52
	v_add_f16_e32 v45, v50, v45
	v_pk_add_f16 v50, v12, v8
	v_pk_add_f16 v8, v8, v12 neg_lo:[0,1] neg_hi:[0,1]
	v_fma_f16 v51, v48, s1, v51
	v_mul_f16_sdwa v12, v8, s14 dst_sel:DWORD dst_unused:UNUSED_PAD src0_sel:WORD_1 src1_sel:DWORD
	v_add_f16_e32 v43, v51, v43
	v_fma_f16 v51, v50, s15, -v12
	v_fma_f16 v12, v50, s15, v12
	v_add_f16_e32 v12, v12, v13
	v_pk_mul_f16 v13, v50, s20
	s_mov_b32 s20, 0x3bebba0c
	v_add_f16_e32 v15, v51, v15
	v_pk_fma_f16 v51, v8, s20, v13 op_sel:[0,0,1] op_sel_hi:[1,1,0] neg_lo:[1,0,0] neg_hi:[1,0,0]
	v_pk_fma_f16 v13, v8, s20, v13 op_sel:[0,0,1] op_sel_hi:[1,1,0]
	v_bfi_b32 v52, s18, v13, v51
	v_add_f16_e32 v46, v53, v46
	v_pk_add_f16 v19, v52, v19
	v_lshrrev_b32_e32 v52, 16, v50
	v_mul_f16_e32 v53, 0x3beb, v8
	v_fma_f16 v54, v52, s2, v53
	v_fma_f16 v53, v52, s2, -v53
	v_add_f16_e32 v53, v53, v37
	v_mul_f16_sdwa v37, v8, s19 dst_sel:DWORD dst_unused:UNUSED_PAD src0_sel:WORD_1 src1_sel:DWORD
	v_add_f16_e32 v38, v54, v38
	v_fma_f16 v54, v50, s1, -v37
	v_add_f16_e32 v40, v54, v40
	v_mul_f16_e32 v54, 0xb853, v8
	v_fma_f16 v55, v52, s1, v54
	v_fma_f16 v37, v50, s1, v37
	v_add_f16_e32 v42, v55, v42
	v_add_f16_e32 v55, v37, v39
	v_fma_f16 v37, v52, s1, -v54
	s_mov_b32 s19, 0xb482
	v_add_f16_e32 v41, v37, v41
	v_mul_f16_sdwa v37, v8, s19 dst_sel:DWORD dst_unused:UNUSED_PAD src0_sel:WORD_1 src1_sel:DWORD
	v_fma_f16 v39, v50, s16, -v37
	v_add_f16_e32 v44, v39, v44
	v_mul_f16_e32 v39, 0xb482, v8
	v_fma_f16 v54, v52, s16, v39
	v_add_f16_e32 v46, v54, v46
	v_fma_f16 v37, v50, s16, v37
	v_pk_add_f16 v54, v10, v11 neg_lo:[0,1] neg_hi:[0,1]
	v_add_f16_e32 v43, v37, v43
	v_fma_f16 v37, v52, s16, -v39
	v_pk_add_f16 v52, v11, v10
	v_mul_f16_sdwa v10, v54, s19 dst_sel:DWORD dst_unused:UNUSED_PAD src0_sel:WORD_1 src1_sel:DWORD
	v_add_f16_sdwa v17, v0, v17 dst_sel:DWORD dst_unused:UNUSED_PAD src0_sel:WORD_1 src1_sel:DWORD
	v_fma_f16 v11, v52, s16, -v10
	v_fma_f16 v10, v52, s16, v10
	s_mov_b32 s20, 0xbbad3abb
	v_add_f16_e32 v17, v47, v17
	v_add_f16_e32 v12, v10, v12
	v_pk_mul_f16 v10, v52, s20
	s_mov_b32 s20, 0x3853b482
	v_add_f16_e32 v17, v49, v17
	v_add_f16_e32 v15, v11, v15
	v_pk_fma_f16 v11, v54, s20, v10 op_sel:[0,0,1] op_sel_hi:[1,1,0] neg_lo:[1,0,0] neg_hi:[1,0,0]
	v_add_f16_e32 v17, v51, v17
	v_pk_fma_f16 v10, v54, s20, v10 op_sel:[0,0,1] op_sel_hi:[1,1,0]
	v_add_f16_e32 v45, v37, v45
	v_add_f16_e32 v37, v11, v17
	v_bfi_b32 v11, s18, v10, v11
	v_pk_add_f16 v17, v11, v19
	v_lshrrev_b32_e32 v19, 16, v52
	v_mul_f16_e32 v39, 0x3853, v54
	v_fma_f16 v11, v19, s1, v39
	v_add_f16_e32 v47, v11, v38
	v_add_f16_sdwa v11, v0, v18 dst_sel:DWORD dst_unused:UNUSED_PAD src0_sel:DWORD src1_sel:WORD_1
	v_add_f16_sdwa v11, v16, v11 dst_sel:DWORD dst_unused:UNUSED_PAD src0_sel:WORD_1 src1_sel:DWORD
	v_add_f16_sdwa v11, v14, v11 dst_sel:DWORD dst_unused:UNUSED_PAD src0_sel:WORD_1 src1_sel:DWORD
	v_add_f16_sdwa v11, v13, v11 dst_sel:DWORD dst_unused:UNUSED_PAD src0_sel:WORD_1 src1_sel:DWORD
	v_add_f16_sdwa v11, v10, v11 dst_sel:DWORD dst_unused:UNUSED_PAD src0_sel:WORD_1 src1_sel:DWORD
	v_fma_f16 v10, v19, s1, -v39
	v_add_f16_e32 v39, v10, v53
	v_mul_f16_sdwa v10, v54, s14 dst_sel:DWORD dst_unused:UNUSED_PAD src0_sel:WORD_1 src1_sel:DWORD
	v_mul_f16_e32 v14, 0xba0c, v54
	v_fma_f16 v13, v52, s15, -v10
	v_fma_f16 v16, v19, s15, v14
	v_fma_f16 v14, v19, s15, -v14
	v_add_f16_e32 v13, v13, v40
	v_add_f16_e32 v38, v14, v41
	v_mul_f16_sdwa v14, v54, s17 dst_sel:DWORD dst_unused:UNUSED_PAD src0_sel:WORD_1 src1_sel:DWORD
	v_mul_f16_e32 v40, 0x3b47, v54
	v_fma_f16 v18, v52, s3, -v14
	v_fma_f16 v41, v19, s3, v40
	v_add_f16_e32 v16, v16, v42
	v_add_f16_e32 v18, v18, v44
	;; [unrolled: 1-line block ×3, first 2 shown]
	v_fma_f16 v19, v19, s3, -v40
	v_alignbit_b32 v40, v47, v17, 16
	v_pack_b32_f16 v15, v15, v17
	ds_write2_b32 v34, v15, v40 offset0:1 offset1:2
	v_pack_b32_f16 v15, v18, v41
	v_pack_b32_f16 v13, v13, v16
	v_pk_mul_f16 v3, v3, s16 op_sel_hi:[1,0]
	ds_write2_b32 v34, v13, v15 offset0:3 offset1:4
	v_pk_fma_f16 v13, v1, s19, v3 op_sel:[0,0,1] op_sel_hi:[1,0,0] neg_lo:[1,0,0] neg_hi:[1,0,0]
	s_movk_i32 s18, 0x3853
	v_alignbit_b32 v15, s0, v13, 16
	v_pk_fma_f16 v1, v1, s19, v3 op_sel:[0,0,1] op_sel_hi:[1,0,0]
	v_pk_mul_f16 v3, v6, s1 op_sel_hi:[1,0]
	v_pk_add_f16 v15, v0, v15
	v_pk_add_f16 v0, v0, v1 op_sel:[1,0] op_sel_hi:[0,1]
	v_pk_add_f16 v1, v4, v13
	v_pk_fma_f16 v4, v5, s18, v3 op_sel:[0,0,1] op_sel_hi:[1,0,0] neg_lo:[1,0,0] neg_hi:[1,0,0]
	v_pk_fma_f16 v3, v5, s18, v3 op_sel:[0,0,1] op_sel_hi:[1,0,0]
	v_pk_add_f16 v0, v3, v0
	v_pk_mul_f16 v3, v48, s15 op_sel_hi:[1,0]
	v_alignbit_b32 v6, s0, v4, 16
	v_pk_add_f16 v1, v4, v1
	v_pk_fma_f16 v4, v7, s14, v3 op_sel:[0,0,1] op_sel_hi:[1,0,0] neg_lo:[1,0,0] neg_hi:[1,0,0]
	v_pk_fma_f16 v3, v7, s14, v3 op_sel:[0,0,1] op_sel_hi:[1,0,0]
	v_pk_add_f16 v0, v3, v0
	v_pk_mul_f16 v3, v50, s3 op_sel_hi:[1,0]
	v_alignbit_b32 v5, s0, v4, 16
	v_pk_add_f16 v1, v4, v1
	v_pk_fma_f16 v4, v8, s17, v3 op_sel:[0,0,1] op_sel_hi:[1,0,0] neg_lo:[1,0,0] neg_hi:[1,0,0]
	v_pk_fma_f16 v3, v8, s17, v3 op_sel:[0,0,1] op_sel_hi:[1,0,0]
	v_pk_add_f16 v6, v6, v15
	v_pk_add_f16 v0, v3, v0
	v_pk_mul_f16 v3, v52, s2 op_sel_hi:[1,0]
	v_pk_add_f16 v5, v5, v6
	v_alignbit_b32 v6, s0, v4, 16
	v_pk_add_f16 v1, v4, v1
	v_pk_fma_f16 v4, v54, s0, v3 op_sel:[0,0,1] op_sel_hi:[1,0,0] neg_lo:[1,0,0] neg_hi:[1,0,0]
	v_pk_add_f16 v5, v6, v5
	v_alignbit_b32 v6, s0, v4, 16
	v_pk_fma_f16 v3, v54, s0, v3 op_sel:[0,0,1] op_sel_hi:[1,0,0]
	v_fma_f16 v10, v52, s15, v10
	v_fma_f16 v14, v52, s3, v14
	v_pk_add_f16 v5, v6, v5
	v_pk_add_f16 v0, v3, v0
	;; [unrolled: 1-line block ×3, first 2 shown]
	v_add_f16_e32 v10, v10, v55
	v_add_f16_e32 v14, v14, v43
	;; [unrolled: 1-line block ×3, first 2 shown]
	v_alignbit_b32 v1, v1, v0, 16
	v_pack_b32_f16 v0, v5, v0
	ds_write2_b32 v34, v0, v1 offset0:5 offset1:6
	v_pack_b32_f16 v0, v10, v38
	v_pack_b32_f16 v1, v14, v19
	ds_write2_b32 v34, v1, v0 offset0:7 offset1:8
	v_pack_b32_f16 v0, v12, v37
	v_pack_b32_f16 v1, v11, v39
	ds_write2_b32 v34, v1, v0 offset0:9 offset1:10
	s_waitcnt lgkmcnt(0)
	; wave barrier
	s_waitcnt lgkmcnt(0)
	ds_read2_b32 v[16:17], v24 offset0:4 offset1:11
	ds_read2_b32 v[18:19], v24 offset0:15 offset1:22
	;; [unrolled: 1-line block ×3, first 2 shown]
	ds_read_b32 v40, v33
	ds_read_b32 v42, v24 offset:148
	v_add_co_u32_e32 v14, vcc, s8, v35
	v_addc_co_u32_e32 v15, vcc, 0, v2, vcc
	v_cmp_eq_u32_e64 s[0:1], 3, v30
	v_cmp_ne_u32_e32 vcc, 3, v30
                                        ; implicit-def: $vgpr41
	s_and_saveexec_b64 s[2:3], vcc
	s_cbranch_execz .LBB0_3
; %bb.2:
	ds_read2_b32 v[10:11], v24 offset0:8 offset1:19
	ds_read2_b32 v[12:13], v24 offset0:30 offset1:41
	s_waitcnt lgkmcnt(1)
	v_lshrrev_b32_e32 v38, 16, v10
	v_lshrrev_b32_e32 v39, 16, v11
	s_waitcnt lgkmcnt(0)
	v_lshrrev_b32_e32 v37, 16, v12
	v_lshrrev_b32_e32 v41, 16, v13
.LBB0_3:
	s_or_b64 exec, exec, s[2:3]
	v_mad_u64_u32 v[6:7], s[2:3], v30, 12, s[10:11]
	s_waitcnt lgkmcnt(4)
	v_lshrrev_b32_e32 v8, 16, v17
	s_waitcnt lgkmcnt(3)
	v_lshrrev_b32_e32 v44, 16, v19
	global_load_dwordx3 v[3:5], v[6:7], off
	s_waitcnt lgkmcnt(2)
	v_lshrrev_b32_e32 v45, 16, v1
	v_lshrrev_b32_e32 v47, 16, v18
	;; [unrolled: 1-line block ×3, first 2 shown]
	s_waitcnt lgkmcnt(0)
	v_lshrrev_b32_e32 v49, 16, v42
	v_or_b32_e32 v2, 8, v30
	v_lshrrev_b32_e32 v43, 16, v40
	v_lshrrev_b32_e32 v46, 16, v16
	s_waitcnt vmcnt(0)
	v_mul_f16_sdwa v50, v8, v3 dst_sel:DWORD dst_unused:UNUSED_PAD src0_sel:DWORD src1_sel:WORD_1
	v_fma_f16 v50, v17, v3, -v50
	v_mul_f16_sdwa v17, v17, v3 dst_sel:DWORD dst_unused:UNUSED_PAD src0_sel:DWORD src1_sel:WORD_1
	v_fma_f16 v51, v8, v3, v17
	v_mul_f16_sdwa v8, v44, v4 dst_sel:DWORD dst_unused:UNUSED_PAD src0_sel:DWORD src1_sel:WORD_1
	v_fma_f16 v52, v19, v4, -v8
	v_mul_f16_sdwa v8, v19, v4 dst_sel:DWORD dst_unused:UNUSED_PAD src0_sel:DWORD src1_sel:WORD_1
	v_fma_f16 v19, v44, v4, v8
	v_mul_f16_sdwa v8, v45, v5 dst_sel:DWORD dst_unused:UNUSED_PAD src0_sel:DWORD src1_sel:WORD_1
	v_fma_f16 v44, v1, v5, -v8
	global_load_dwordx3 v[6:8], v[6:7], off offset:48
	v_mul_f16_sdwa v1, v1, v5 dst_sel:DWORD dst_unused:UNUSED_PAD src0_sel:DWORD src1_sel:WORD_1
	v_fma_f16 v45, v45, v5, v1
	v_sub_f16_e32 v19, v43, v19
	v_sub_f16_e32 v44, v50, v44
	;; [unrolled: 1-line block ×3, first 2 shown]
	v_fma_f16 v43, v43, 2.0, -v19
	s_waitcnt vmcnt(0)
	v_mul_f16_sdwa v1, v47, v6 dst_sel:DWORD dst_unused:UNUSED_PAD src0_sel:DWORD src1_sel:WORD_1
	v_fma_f16 v53, v18, v6, -v1
	v_mul_f16_sdwa v1, v18, v6 dst_sel:DWORD dst_unused:UNUSED_PAD src0_sel:DWORD src1_sel:WORD_1
	v_fma_f16 v18, v47, v6, v1
	v_mul_f16_sdwa v1, v48, v7 dst_sel:DWORD dst_unused:UNUSED_PAD src0_sel:DWORD src1_sel:WORD_1
	v_fma_f16 v47, v0, v7, -v1
	v_mul_f16_sdwa v0, v0, v7 dst_sel:DWORD dst_unused:UNUSED_PAD src0_sel:DWORD src1_sel:WORD_1
	v_fma_f16 v48, v48, v7, v0
	v_mul_f16_sdwa v0, v49, v8 dst_sel:DWORD dst_unused:UNUSED_PAD src0_sel:DWORD src1_sel:WORD_1
	v_fma_f16 v54, v42, v8, -v0
	v_mul_f16_sdwa v0, v42, v8 dst_sel:DWORD dst_unused:UNUSED_PAD src0_sel:DWORD src1_sel:WORD_1
	v_fma_f16 v42, v49, v8, v0
	v_mul_hi_u32_u24_e32 v0, 3, v2
	v_mul_u32_u24_e32 v2, 3, v2
	v_cndmask_b32_e64 v1, v0, 0, s[0:1]
	v_cndmask_b32_e64 v0, v2, 0, s[0:1]
	v_lshlrev_b64 v[0:1], 2, v[0:1]
	v_mov_b32_e32 v2, s11
	v_add_co_u32_e64 v0, s[0:1], s10, v0
	v_addc_co_u32_e64 v1, s[0:1], v2, v1, s[0:1]
	global_load_dwordx3 v[0:2], v[0:1], off
	v_fma_f16 v49, v50, 2.0, -v44
	v_add_f16_e32 v44, v19, v44
	v_fma_f16 v50, v51, 2.0, -v45
	v_fma_f16 v51, v19, 2.0, -v44
	v_sub_f16_e32 v19, v16, v47
	v_sub_f16_e32 v47, v46, v48
	;; [unrolled: 1-line block ×5, first 2 shown]
	v_fma_f16 v16, v16, 2.0, -v19
	v_fma_f16 v46, v46, 2.0, -v47
	;; [unrolled: 1-line block ×4, first 2 shown]
	v_sub_f16_e32 v42, v19, v42
	v_fma_f16 v55, v19, 2.0, -v42
	s_waitcnt vmcnt(0)
	v_mul_f16_sdwa v17, v39, v0 dst_sel:DWORD dst_unused:UNUSED_PAD src0_sel:DWORD src1_sel:WORD_1
	v_fma_f16 v17, v11, v0, -v17
	v_mul_f16_sdwa v11, v11, v0 dst_sel:DWORD dst_unused:UNUSED_PAD src0_sel:DWORD src1_sel:WORD_1
	v_fma_f16 v11, v39, v0, v11
	v_mul_f16_sdwa v39, v37, v1 dst_sel:DWORD dst_unused:UNUSED_PAD src0_sel:DWORD src1_sel:WORD_1
	v_fma_f16 v39, v12, v1, -v39
	v_mul_f16_sdwa v12, v12, v1 dst_sel:DWORD dst_unused:UNUSED_PAD src0_sel:DWORD src1_sel:WORD_1
	v_fma_f16 v12, v37, v1, v12
	v_mul_f16_sdwa v37, v41, v2 dst_sel:DWORD dst_unused:UNUSED_PAD src0_sel:DWORD src1_sel:WORD_1
	v_fma_f16 v37, v13, v2, -v37
	v_mul_f16_sdwa v13, v13, v2 dst_sel:DWORD dst_unused:UNUSED_PAD src0_sel:DWORD src1_sel:WORD_1
	v_fma_f16 v13, v41, v2, v13
	v_sub_f16_e32 v41, v40, v52
	v_fma_f16 v40, v40, 2.0, -v41
	v_sub_f16_e32 v49, v40, v49
	v_fma_f16 v52, v53, 2.0, -v48
	v_fma_f16 v40, v40, 2.0, -v49
	v_sub_f16_e32 v45, v41, v45
	v_sub_f16_e32 v52, v16, v52
	v_sub_f16_e32 v53, v46, v18
	v_fma_f16 v41, v41, 2.0, -v45
	v_fma_f16 v54, v16, 2.0, -v52
	v_fma_f16 v46, v46, 2.0, -v53
	v_add_f16_e32 v48, v47, v48
	v_sub_f16_e32 v16, v10, v39
	v_pack_b32_f16 v39, v40, v43
	v_fma_f16 v47, v47, 2.0, -v48
	ds_write_b32 v33, v39
	v_pack_b32_f16 v39, v41, v51
	v_pack_b32_f16 v43, v54, v46
	;; [unrolled: 1-line block ×3, first 2 shown]
	ds_write2_b32 v24, v43, v39 offset0:4 offset1:11
	v_pack_b32_f16 v39, v55, v47
	v_sub_f16_e32 v12, v38, v12
	v_sub_f16_e32 v18, v17, v37
	;; [unrolled: 1-line block ×3, first 2 shown]
	v_pack_b32_f16 v41, v45, v44
	ds_write2_b32 v24, v39, v40 offset0:15 offset1:22
	v_pack_b32_f16 v39, v52, v53
	v_sub_f16_e32 v19, v16, v13
	v_add_f16_e32 v37, v12, v18
	ds_write2_b32 v24, v39, v41 offset0:26 offset1:33
	v_pack_b32_f16 v39, v42, v48
	ds_write_b32 v24, v39 offset:148
	s_and_saveexec_b64 s[0:1], vcc
	s_cbranch_execz .LBB0_5
; %bb.4:
	v_fma_f16 v39, v16, 2.0, -v19
	v_fma_f16 v40, v12, 2.0, -v37
	;; [unrolled: 1-line block ×6, first 2 shown]
	v_sub_f16_e32 v16, v10, v16
	v_sub_f16_e32 v11, v12, v11
	v_fma_f16 v10, v10, 2.0, -v16
	v_fma_f16 v12, v12, 2.0, -v11
	v_pack_b32_f16 v10, v10, v12
	v_pack_b32_f16 v12, v39, v40
	s_mov_b32 s2, 0x5040100
	ds_write2_b32 v24, v10, v12 offset0:8 offset1:19
	v_pack_b32_f16 v10, v16, v11
	v_perm_b32 v11, v37, v19, s2
	ds_write2_b32 v24, v10, v11 offset0:30 offset1:41
.LBB0_5:
	s_or_b64 exec, exec, s[0:1]
	s_waitcnt lgkmcnt(0)
	; wave barrier
	s_waitcnt lgkmcnt(0)
	global_load_dword v10, v[14:15], off offset:176
	s_add_u32 s0, s8, 0xb0
	s_addc_u32 s1, s9, 0
	global_load_dword v38, v35, s[0:1] offset:16
	global_load_dword v39, v35, s[0:1] offset:32
	;; [unrolled: 1-line block ×10, first 2 shown]
	ds_read_b32 v11, v33
	v_lshl_add_u32 v18, v36, 2, v35
	s_mov_b32 s10, 0xb853
	s_movk_i32 s8, 0x3abb
	s_mov_b32 s11, 0xbb47
	s_waitcnt lgkmcnt(0)
	v_lshrrev_b32_e32 v12, 16, v11
	s_mov_b32 s0, 0xffff
	s_movk_i32 s1, 0x36a6
	s_mov_b32 s15, 0xba0c
	s_mov_b32 s16, 0xb93d
	s_movk_i32 s2, 0x3b47
	s_mov_b32 s3, 0xbbeb
	s_mov_b32 s9, 0xb08e
	s_movk_i32 s18, 0x3482
	s_movk_i32 s17, 0x3a0c
	s_mov_b32 s19, 0xbbad
	s_movk_i32 s14, 0x3beb
	s_mov_b32 s20, 0xb482
	s_movk_i32 s21, 0x3853
	s_waitcnt vmcnt(10)
	v_mul_f16_sdwa v13, v12, v10 dst_sel:DWORD dst_unused:UNUSED_PAD src0_sel:DWORD src1_sel:WORD_1
	v_mul_f16_sdwa v14, v11, v10 dst_sel:DWORD dst_unused:UNUSED_PAD src0_sel:DWORD src1_sel:WORD_1
	v_fma_f16 v11, v11, v10, -v13
	v_fma_f16 v10, v12, v10, v14
	v_pack_b32_f16 v10, v11, v10
	ds_write_b32 v33, v10
	ds_read2_b32 v[10:11], v24 offset0:4 offset1:12
	ds_read2_b32 v[12:13], v24 offset0:16 offset1:20
	;; [unrolled: 1-line block ×3, first 2 shown]
	ds_read_b32 v35, v18 offset:32
	ds_read2_b32 v[16:17], v24 offset0:32 offset1:36
	ds_read_b32 v36, v24 offset:160
	s_waitcnt lgkmcnt(5)
	v_lshrrev_b32_e32 v48, 16, v10
	s_waitcnt vmcnt(9)
	v_mul_f16_sdwa v49, v10, v38 dst_sel:DWORD dst_unused:UNUSED_PAD src0_sel:DWORD src1_sel:WORD_1
	s_waitcnt lgkmcnt(2)
	v_lshrrev_b32_e32 v50, 16, v35
	s_waitcnt vmcnt(8)
	v_mul_f16_sdwa v51, v35, v39 dst_sel:DWORD dst_unused:UNUSED_PAD src0_sel:DWORD src1_sel:WORD_1
	v_lshrrev_b32_e32 v52, 16, v11
	s_waitcnt vmcnt(7)
	v_mul_f16_sdwa v53, v11, v40 dst_sel:DWORD dst_unused:UNUSED_PAD src0_sel:DWORD src1_sel:WORD_1
	;; [unrolled: 3-line block ×6, first 2 shown]
	s_waitcnt lgkmcnt(1)
	v_lshrrev_b32_e32 v62, 16, v16
	s_waitcnt vmcnt(2)
	v_mul_f16_sdwa v63, v16, v45 dst_sel:DWORD dst_unused:UNUSED_PAD src0_sel:DWORD src1_sel:WORD_1
	v_lshrrev_b32_e32 v64, 16, v17
	s_waitcnt vmcnt(1)
	v_mul_f16_sdwa v65, v17, v46 dst_sel:DWORD dst_unused:UNUSED_PAD src0_sel:DWORD src1_sel:WORD_1
	s_waitcnt lgkmcnt(0)
	v_lshrrev_b32_e32 v66, 16, v36
	v_mul_f16_sdwa v68, v48, v38 dst_sel:DWORD dst_unused:UNUSED_PAD src0_sel:DWORD src1_sel:WORD_1
	v_fma_f16 v48, v48, v38, v49
	v_mul_f16_sdwa v49, v50, v39 dst_sel:DWORD dst_unused:UNUSED_PAD src0_sel:DWORD src1_sel:WORD_1
	s_waitcnt vmcnt(0)
	v_mul_f16_sdwa v67, v36, v47 dst_sel:DWORD dst_unused:UNUSED_PAD src0_sel:DWORD src1_sel:WORD_1
	v_fma_f16 v50, v50, v39, v51
	v_mul_f16_sdwa v51, v52, v40 dst_sel:DWORD dst_unused:UNUSED_PAD src0_sel:DWORD src1_sel:WORD_1
	v_fma_f16 v52, v52, v40, v53
	;; [unrolled: 2-line block ×8, first 2 shown]
	v_mul_f16_sdwa v65, v66, v47 dst_sel:DWORD dst_unused:UNUSED_PAD src0_sel:DWORD src1_sel:WORD_1
	v_fma_f16 v10, v10, v38, -v68
	v_fma_f16 v35, v35, v39, -v49
	v_fma_f16 v66, v66, v47, v67
	v_fma_f16 v11, v11, v40, -v51
	v_fma_f16 v12, v12, v41, -v53
	;; [unrolled: 1-line block ×8, first 2 shown]
	v_pack_b32_f16 v10, v10, v48
	v_pack_b32_f16 v35, v35, v50
	;; [unrolled: 1-line block ×9, first 2 shown]
	ds_write_b32 v18, v35 offset:32
	ds_write2_b32 v24, v10, v11 offset0:4 offset1:12
	ds_write2_b32 v24, v12, v13 offset0:16 offset1:20
	ds_write2_b32 v24, v14, v15 offset0:24 offset1:28
	ds_write2_b32 v24, v16, v17 offset0:32 offset1:36
	v_pack_b32_f16 v10, v36, v66
	ds_write_b32 v24, v10 offset:160
	s_waitcnt lgkmcnt(0)
	; wave barrier
	s_waitcnt lgkmcnt(0)
	ds_read_b32 v39, v33
	ds_read2_b32 v[10:11], v24 offset0:4 offset1:12
	ds_read2_b32 v[12:13], v24 offset0:16 offset1:20
	ds_read_b32 v35, v18 offset:32
	ds_read2_b32 v[14:15], v24 offset0:24 offset1:28
	ds_read2_b32 v[16:17], v24 offset0:32 offset1:36
	ds_read_b32 v36, v24 offset:160
	s_waitcnt lgkmcnt(5)
	v_pk_add_f16 v38, v39, v10
	s_waitcnt lgkmcnt(3)
	v_pk_add_f16 v38, v38, v35
	v_pk_add_f16 v38, v38, v11
	;; [unrolled: 1-line block ×4, first 2 shown]
	s_waitcnt lgkmcnt(2)
	v_pk_add_f16 v38, v38, v14
	v_pk_add_f16 v38, v38, v15
	s_waitcnt lgkmcnt(1)
	v_pk_add_f16 v38, v38, v16
	s_waitcnt lgkmcnt(0)
	v_pk_add_f16 v42, v10, v36 neg_lo:[0,1] neg_hi:[0,1]
	v_pk_add_f16 v38, v38, v17
	v_pk_add_f16 v41, v36, v10
	v_pk_mul_f16 v10, v42, s10 op_sel_hi:[1,0]
	v_pk_add_f16 v55, v17, v35
	v_pk_add_f16 v17, v35, v17 neg_lo:[0,1] neg_hi:[0,1]
	v_pk_fma_f16 v43, v41, s8, v10 op_sel:[0,0,1] op_sel_hi:[1,0,0]
	v_pk_fma_f16 v44, v41, s8, v10 op_sel:[0,0,1] op_sel_hi:[1,0,0] neg_lo:[0,0,1] neg_hi:[0,0,1]
	v_pk_mul_f16 v35, v17, s11 op_sel_hi:[1,0]
	v_bfi_b32 v10, s0, v43, v44
	v_pk_fma_f16 v56, v55, s1, v35 op_sel:[0,0,1] op_sel_hi:[1,0,0]
	v_pk_fma_f16 v57, v55, s1, v35 op_sel:[0,0,1] op_sel_hi:[1,0,0] neg_lo:[0,0,1] neg_hi:[0,0,1]
	v_pk_add_f16 v40, v38, v36
	v_pk_add_f16 v10, v39, v10
	v_mul_f16_sdwa v36, v42, s11 dst_sel:DWORD dst_unused:UNUSED_PAD src0_sel:WORD_1 src1_sel:DWORD
	v_bfi_b32 v35, s0, v56, v57
	v_fma_f16 v38, v41, s1, v36
	v_pk_add_f16 v10, v35, v10
	v_mul_f16_sdwa v35, v17, s15 dst_sel:DWORD dst_unused:UNUSED_PAD src0_sel:WORD_1 src1_sel:DWORD
	v_add_f16_e32 v38, v39, v38
	v_mul_f16_sdwa v45, v41, s1 dst_sel:DWORD dst_unused:UNUSED_PAD src0_sel:WORD_1 src1_sel:DWORD
	v_fma_f16 v36, v41, s1, -v36
	v_fma_f16 v58, v55, s16, v35
	v_fma_f16 v46, v42, s2, v45
	v_add_f16_e32 v36, v39, v36
	v_fma_f16 v45, v42, s11, v45
	v_add_f16_e32 v38, v58, v38
	v_mul_f16_sdwa v58, v55, s16 dst_sel:DWORD dst_unused:UNUSED_PAD src0_sel:WORD_1 src1_sel:DWORD
	v_fma_f16 v35, v55, s16, -v35
	v_add_f16_sdwa v45, v39, v45 dst_sel:DWORD dst_unused:UNUSED_PAD src0_sel:WORD_1 src1_sel:DWORD
	v_mul_f16_sdwa v47, v42, s3 dst_sel:DWORD dst_unused:UNUSED_PAD src0_sel:WORD_1 src1_sel:DWORD
	v_add_f16_e32 v35, v35, v36
	v_fma_f16 v36, v17, s15, v58
	v_fma_f16 v48, v41, s9, v47
	v_add_f16_e32 v36, v36, v45
	v_mul_f16_sdwa v45, v17, s18 dst_sel:DWORD dst_unused:UNUSED_PAD src0_sel:WORD_1 src1_sel:DWORD
	v_add_f16_e32 v48, v39, v48
	v_mul_f16_sdwa v49, v41, s9 dst_sel:DWORD dst_unused:UNUSED_PAD src0_sel:WORD_1 src1_sel:DWORD
	v_fma_f16 v47, v41, s9, -v47
	v_fma_f16 v59, v17, s17, v58
	v_fma_f16 v58, v55, s19, v45
	;; [unrolled: 1-line block ×3, first 2 shown]
	v_add_f16_e32 v47, v39, v47
	v_fma_f16 v49, v42, s3, v49
	v_add_f16_e32 v48, v58, v48
	v_mul_f16_sdwa v58, v55, s19 dst_sel:DWORD dst_unused:UNUSED_PAD src0_sel:WORD_1 src1_sel:DWORD
	v_fma_f16 v45, v55, s19, -v45
	v_add_f16_sdwa v49, v39, v49 dst_sel:DWORD dst_unused:UNUSED_PAD src0_sel:WORD_1 src1_sel:DWORD
	v_mul_f16_sdwa v51, v42, s15 dst_sel:DWORD dst_unused:UNUSED_PAD src0_sel:WORD_1 src1_sel:DWORD
	v_add_f16_e32 v45, v45, v47
	v_fma_f16 v47, v17, s18, v58
	v_add_f16_sdwa v46, v39, v46 dst_sel:DWORD dst_unused:UNUSED_PAD src0_sel:WORD_1 src1_sel:DWORD
	v_fma_f16 v52, v41, s16, v51
	v_add_f16_e32 v47, v47, v49
	v_mul_f16_sdwa v49, v17, s14 dst_sel:DWORD dst_unused:UNUSED_PAD src0_sel:WORD_1 src1_sel:DWORD
	v_add_f16_e32 v52, v39, v52
	v_mul_f16_sdwa v53, v41, s16 dst_sel:DWORD dst_unused:UNUSED_PAD src0_sel:WORD_1 src1_sel:DWORD
	v_fma_f16 v51, v41, s16, -v51
	v_add_f16_e32 v46, v59, v46
	v_fma_f16 v59, v17, s20, v58
	v_fma_f16 v58, v55, s9, v49
	v_fma_f16 v54, v42, s17, v53
	v_add_f16_e32 v51, v39, v51
	v_fma_f16 v53, v42, s15, v53
	v_add_f16_e32 v52, v58, v52
	v_mul_f16_sdwa v58, v55, s9 dst_sel:DWORD dst_unused:UNUSED_PAD src0_sel:WORD_1 src1_sel:DWORD
	v_fma_f16 v49, v55, s9, -v49
	v_add_f16_sdwa v53, v39, v53 dst_sel:DWORD dst_unused:UNUSED_PAD src0_sel:WORD_1 src1_sel:DWORD
	v_add_f16_e32 v49, v49, v51
	v_fma_f16 v51, v17, s14, v58
	v_add_f16_e32 v51, v51, v53
	v_pk_add_f16 v53, v16, v11
	v_pk_add_f16 v11, v11, v16 neg_lo:[0,1] neg_hi:[0,1]
	v_add_f16_sdwa v50, v39, v50 dst_sel:DWORD dst_unused:UNUSED_PAD src0_sel:WORD_1 src1_sel:DWORD
	v_pk_mul_f16 v16, v11, s3 op_sel_hi:[1,0]
	v_add_f16_sdwa v54, v39, v54 dst_sel:DWORD dst_unused:UNUSED_PAD src0_sel:WORD_1 src1_sel:DWORD
	v_add_f16_e32 v50, v59, v50
	v_fma_f16 v59, v17, s3, v58
	v_pk_fma_f16 v58, v53, s9, v16 op_sel:[0,0,1] op_sel_hi:[1,0,0]
	v_pk_fma_f16 v16, v53, s9, v16 op_sel:[0,0,1] op_sel_hi:[1,0,0] neg_lo:[0,0,1] neg_hi:[0,0,1]
	v_add_f16_e32 v54, v59, v54
	v_bfi_b32 v59, s0, v58, v16
	v_pk_add_f16 v10, v59, v10
	v_mul_f16_sdwa v59, v11, s18 dst_sel:DWORD dst_unused:UNUSED_PAD src0_sel:WORD_1 src1_sel:DWORD
	v_fma_f16 v60, v53, s19, v59
	v_add_f16_e32 v38, v60, v38
	v_mul_f16_sdwa v60, v53, s19 dst_sel:DWORD dst_unused:UNUSED_PAD src0_sel:WORD_1 src1_sel:DWORD
	v_fma_f16 v59, v53, s19, -v59
	v_add_f16_e32 v35, v59, v35
	v_fma_f16 v59, v11, s18, v60
	v_add_f16_e32 v36, v59, v36
	v_mul_f16_sdwa v59, v11, s2 dst_sel:DWORD dst_unused:UNUSED_PAD src0_sel:WORD_1 src1_sel:DWORD
	v_fma_f16 v61, v11, s20, v60
	v_fma_f16 v60, v53, s1, v59
	v_add_f16_e32 v48, v60, v48
	v_mul_f16_sdwa v60, v53, s1 dst_sel:DWORD dst_unused:UNUSED_PAD src0_sel:WORD_1 src1_sel:DWORD
	v_fma_f16 v59, v53, s1, -v59
	v_add_f16_e32 v45, v59, v45
	v_fma_f16 v59, v11, s2, v60
	v_add_f16_e32 v47, v59, v47
	v_mul_f16_sdwa v59, v11, s10 dst_sel:DWORD dst_unused:UNUSED_PAD src0_sel:WORD_1 src1_sel:DWORD
	v_add_f16_e32 v46, v61, v46
	v_fma_f16 v61, v11, s11, v60
	v_fma_f16 v60, v53, s8, v59
	v_add_f16_e32 v52, v60, v52
	v_mul_f16_sdwa v60, v53, s8 dst_sel:DWORD dst_unused:UNUSED_PAD src0_sel:WORD_1 src1_sel:DWORD
	v_fma_f16 v59, v53, s8, -v59
	v_add_f16_e32 v49, v59, v49
	v_fma_f16 v59, v11, s10, v60
	v_add_f16_e32 v51, v59, v51
	v_pk_add_f16 v59, v15, v12
	v_pk_add_f16 v12, v12, v15 neg_lo:[0,1] neg_hi:[0,1]
	v_pk_mul_f16 v15, v12, s15 op_sel_hi:[1,0]
	v_add_f16_e32 v50, v61, v50
	v_fma_f16 v61, v11, s21, v60
	v_pk_fma_f16 v60, v59, s16, v15 op_sel:[0,0,1] op_sel_hi:[1,0,0]
	v_pk_fma_f16 v15, v59, s16, v15 op_sel:[0,0,1] op_sel_hi:[1,0,0] neg_lo:[0,0,1] neg_hi:[0,0,1]
	v_add_f16_e32 v54, v61, v54
	v_bfi_b32 v61, s0, v60, v15
	v_pk_add_f16 v10, v61, v10
	v_mul_f16_sdwa v61, v12, s14 dst_sel:DWORD dst_unused:UNUSED_PAD src0_sel:WORD_1 src1_sel:DWORD
	v_fma_f16 v62, v59, s9, v61
	v_add_f16_e32 v38, v62, v38
	v_mul_f16_sdwa v62, v59, s9 dst_sel:DWORD dst_unused:UNUSED_PAD src0_sel:WORD_1 src1_sel:DWORD
	v_fma_f16 v61, v59, s9, -v61
	v_add_f16_e32 v35, v61, v35
	v_fma_f16 v61, v12, s14, v62
	v_add_f16_e32 v36, v61, v36
	v_mul_f16_sdwa v61, v12, s10 dst_sel:DWORD dst_unused:UNUSED_PAD src0_sel:WORD_1 src1_sel:DWORD
	v_fma_f16 v63, v12, s3, v62
	v_fma_f16 v62, v59, s8, v61
	v_add_f16_e32 v48, v62, v48
	v_mul_f16_sdwa v62, v59, s8 dst_sel:DWORD dst_unused:UNUSED_PAD src0_sel:WORD_1 src1_sel:DWORD
	v_fma_f16 v61, v59, s8, -v61
	v_add_f16_e32 v45, v61, v45
	v_fma_f16 v61, v12, s10, v62
	v_add_f16_e32 v47, v61, v47
	v_mul_f16_sdwa v61, v12, s20 dst_sel:DWORD dst_unused:UNUSED_PAD src0_sel:WORD_1 src1_sel:DWORD
	v_add_f16_e32 v46, v63, v46
	v_fma_f16 v63, v12, s21, v62
	v_fma_f16 v62, v59, s19, v61
	v_add_f16_e32 v52, v62, v52
	v_mul_f16_sdwa v62, v59, s19 dst_sel:DWORD dst_unused:UNUSED_PAD src0_sel:WORD_1 src1_sel:DWORD
	v_fma_f16 v61, v59, s19, -v61
	v_add_f16_e32 v49, v61, v49
	v_fma_f16 v61, v12, s20, v62
	v_add_f16_e32 v51, v61, v51
	v_pk_add_f16 v61, v14, v13
	v_pk_add_f16 v13, v13, v14 neg_lo:[0,1] neg_hi:[0,1]
	v_pk_mul_f16 v14, v13, s20 op_sel_hi:[1,0]
	v_add_f16_e32 v50, v63, v50
	v_fma_f16 v63, v12, s18, v62
	v_pk_fma_f16 v62, v61, s19, v14 op_sel:[0,0,1] op_sel_hi:[1,0,0]
	v_pk_fma_f16 v14, v61, s19, v14 op_sel:[0,0,1] op_sel_hi:[1,0,0] neg_lo:[0,0,1] neg_hi:[0,0,1]
	v_add_f16_e32 v54, v63, v54
	v_bfi_b32 v63, s0, v62, v14
	v_pk_add_f16 v63, v63, v10
	v_mul_f16_sdwa v10, v13, s21 dst_sel:DWORD dst_unused:UNUSED_PAD src0_sel:WORD_1 src1_sel:DWORD
	v_fma_f16 v64, v61, s8, v10
	v_add_f16_e32 v64, v64, v38
	v_mul_f16_sdwa v38, v61, s8 dst_sel:DWORD dst_unused:UNUSED_PAD src0_sel:WORD_1 src1_sel:DWORD
	v_fma_f16 v10, v61, s8, -v10
	v_add_f16_e32 v10, v10, v35
	v_fma_f16 v35, v13, s21, v38
	v_fma_f16 v65, v13, s10, v38
	v_add_f16_e32 v38, v35, v36
	v_mul_f16_sdwa v35, v13, s15 dst_sel:DWORD dst_unused:UNUSED_PAD src0_sel:WORD_1 src1_sel:DWORD
	v_fma_f16 v36, v61, s16, v35
	v_add_f16_e32 v48, v36, v48
	v_mul_f16_sdwa v36, v61, s16 dst_sel:DWORD dst_unused:UNUSED_PAD src0_sel:WORD_1 src1_sel:DWORD
	v_fma_f16 v35, v61, s16, -v35
	v_add_f16_e32 v46, v65, v46
	v_fma_f16 v65, v13, s17, v36
	v_add_f16_e32 v35, v35, v45
	v_fma_f16 v36, v13, s15, v36
	v_mul_f16_sdwa v45, v13, s2 dst_sel:DWORD dst_unused:UNUSED_PAD src0_sel:WORD_1 src1_sel:DWORD
	v_add_f16_e32 v36, v36, v47
	v_fma_f16 v47, v61, s1, v45
	v_add_f16_e32 v47, v47, v52
	v_mul_f16_sdwa v52, v61, s1 dst_sel:DWORD dst_unused:UNUSED_PAD src0_sel:WORD_1 src1_sel:DWORD
	v_add_f16_e32 v50, v65, v50
	v_fma_f16 v65, v13, s11, v52
	s_waitcnt lgkmcnt(0)
	; wave barrier
	v_add_f16_e32 v54, v65, v54
	ds_write2_b32 v34, v40, v63 offset1:1
	v_pack_b32_f16 v40, v48, v50
	v_pack_b32_f16 v46, v64, v46
	ds_write2_b32 v34, v46, v40 offset0:2 offset1:3
	v_pack_b32_f16 v40, v47, v54
	ds_write_b32 v34, v40 offset:16
	v_pk_mul_f16 v40, v41, s19 op_sel_hi:[1,0]
	v_pk_fma_f16 v41, v42, s20, v40 op_sel:[0,0,1] op_sel_hi:[1,0,0]
	v_pk_fma_f16 v40, v42, s20, v40 op_sel:[0,0,1] op_sel_hi:[1,0,0] neg_lo:[1,0,0] neg_hi:[1,0,0]
	v_alignbit_b32 v42, s0, v39, 16
	v_alignbit_b32 v46, s0, v41, 16
	v_pk_add_f16 v41, v42, v41
	v_pk_mul_f16 v42, v55, s8 op_sel_hi:[1,0]
	v_pk_add_f16 v40, v39, v40 op_sel:[1,0] op_sel_hi:[0,1]
	v_pk_fma_f16 v47, v17, s21, v42 op_sel:[0,0,1] op_sel_hi:[1,0,0]
	v_pk_fma_f16 v17, v17, s21, v42 op_sel:[0,0,1] op_sel_hi:[1,0,0] neg_lo:[1,0,0] neg_hi:[1,0,0]
	v_pk_add_f16 v17, v17, v40
	v_pk_add_f16 v40, v47, v41
	v_pk_mul_f16 v41, v53, s16 op_sel_hi:[1,0]
	v_pk_fma_f16 v42, v11, s15, v41 op_sel:[0,0,1] op_sel_hi:[1,0,0]
	v_pk_fma_f16 v11, v11, s15, v41 op_sel:[0,0,1] op_sel_hi:[1,0,0] neg_lo:[1,0,0] neg_hi:[1,0,0]
	v_pk_add_f16 v11, v11, v17
	v_pk_add_f16 v17, v42, v40
	v_pk_mul_f16 v40, v59, s1 op_sel_hi:[1,0]
	v_pk_add_f16 v46, v39, v46
	v_alignbit_b32 v48, s0, v47, 16
	v_pk_fma_f16 v41, v12, s2, v40 op_sel:[0,0,1] op_sel_hi:[1,0,0]
	v_pk_fma_f16 v12, v12, s2, v40 op_sel:[0,0,1] op_sel_hi:[1,0,0] neg_lo:[1,0,0] neg_hi:[1,0,0]
	v_pk_add_f16 v46, v48, v46
	v_alignbit_b32 v47, s0, v42, 16
	v_pk_add_f16 v11, v12, v11
	v_pk_add_f16 v12, v41, v17
	v_pk_mul_f16 v17, v61, s9 op_sel_hi:[1,0]
	v_fma_f16 v45, v61, s1, -v45
	v_pk_add_f16 v46, v47, v46
	v_alignbit_b32 v42, s0, v41, 16
	v_pk_fma_f16 v40, v13, s3, v17 op_sel:[0,0,1] op_sel_hi:[1,0,0]
	v_add_f16_e32 v45, v45, v49
	v_fma_f16 v49, v13, s2, v52
	v_pk_add_f16 v42, v42, v46
	v_alignbit_b32 v41, s0, v40, 16
	v_pk_fma_f16 v13, v13, s3, v17 op_sel:[0,0,1] op_sel_hi:[1,0,0] neg_lo:[1,0,0] neg_hi:[1,0,0]
	v_pk_add_f16 v41, v41, v42
	v_pk_add_f16 v11, v13, v11
	;; [unrolled: 1-line block ×3, first 2 shown]
	v_add_f16_e32 v49, v49, v51
	v_alignbit_b32 v12, v12, v11, 16
	v_pack_b32_f16 v11, v41, v11
	ds_write2_b32 v34, v11, v12 offset0:5 offset1:6
	v_pack_b32_f16 v11, v35, v36
	v_pack_b32_f16 v12, v45, v49
	ds_write2_b32 v34, v12, v11 offset0:7 offset1:8
	v_bfi_b32 v11, s0, v44, v43
	v_pk_add_f16 v11, v39, v11
	v_bfi_b32 v12, s0, v57, v56
	v_pk_add_f16 v11, v12, v11
	;; [unrolled: 2-line block ×5, first 2 shown]
	v_pack_b32_f16 v12, v10, v38
	ds_write2_b32 v34, v12, v11 offset0:9 offset1:10
	s_waitcnt lgkmcnt(0)
	; wave barrier
	s_waitcnt lgkmcnt(0)
	ds_read2_b32 v[12:13], v24 offset0:4 offset1:11
	ds_read2_b32 v[16:17], v24 offset0:15 offset1:22
	;; [unrolled: 1-line block ×3, first 2 shown]
	ds_read_b32 v39, v33
	ds_read_b32 v40, v24 offset:148
	v_lshrrev_b32_e32 v34, 16, v11
	s_and_saveexec_b64 s[0:1], vcc
	s_cbranch_execz .LBB0_7
; %bb.6:
	ds_read_b32 v35, v18 offset:32
	ds_read2_b32 v[10:11], v24 offset0:19 offset1:30
	ds_read_b32 v19, v24 offset:164
	s_waitcnt lgkmcnt(2)
	v_lshrrev_b32_e32 v36, 16, v35
	s_waitcnt lgkmcnt(1)
	v_lshrrev_b32_e32 v38, 16, v10
	v_lshrrev_b32_e32 v34, 16, v11
	s_waitcnt lgkmcnt(0)
	v_lshrrev_b32_e32 v37, 16, v19
.LBB0_7:
	s_or_b64 exec, exec, s[0:1]
	s_waitcnt lgkmcnt(4)
	v_lshrrev_b32_e32 v42, 16, v13
	v_mul_f16_sdwa v49, v3, v42 dst_sel:DWORD dst_unused:UNUSED_PAD src0_sel:WORD_1 src1_sel:DWORD
	s_waitcnt lgkmcnt(3)
	v_lshrrev_b32_e32 v43, 16, v17
	v_fma_f16 v49, v3, v13, v49
	v_mul_f16_sdwa v13, v3, v13 dst_sel:DWORD dst_unused:UNUSED_PAD src0_sel:WORD_1 src1_sel:DWORD
	v_fma_f16 v3, v3, v42, -v13
	v_mul_f16_sdwa v13, v4, v43 dst_sel:DWORD dst_unused:UNUSED_PAD src0_sel:WORD_1 src1_sel:DWORD
	s_waitcnt lgkmcnt(2)
	v_lshrrev_b32_e32 v44, 16, v15
	v_fma_f16 v13, v4, v17, v13
	v_mul_f16_sdwa v17, v4, v17 dst_sel:DWORD dst_unused:UNUSED_PAD src0_sel:WORD_1 src1_sel:DWORD
	v_fma_f16 v4, v4, v43, -v17
	v_mul_f16_sdwa v17, v5, v44 dst_sel:DWORD dst_unused:UNUSED_PAD src0_sel:WORD_1 src1_sel:DWORD
	v_lshrrev_b32_e32 v46, 16, v16
	v_fma_f16 v17, v5, v15, v17
	v_mul_f16_sdwa v15, v5, v15 dst_sel:DWORD dst_unused:UNUSED_PAD src0_sel:WORD_1 src1_sel:DWORD
	v_fma_f16 v5, v5, v44, -v15
	v_mul_f16_sdwa v15, v6, v46 dst_sel:DWORD dst_unused:UNUSED_PAD src0_sel:WORD_1 src1_sel:DWORD
	;; [unrolled: 5-line block ×3, first 2 shown]
	s_waitcnt lgkmcnt(0)
	v_lshrrev_b32_e32 v48, 16, v40
	v_fma_f16 v16, v7, v14, v16
	v_mul_f16_sdwa v14, v7, v14 dst_sel:DWORD dst_unused:UNUSED_PAD src0_sel:WORD_1 src1_sel:DWORD
	v_fma_f16 v7, v7, v47, -v14
	v_mul_f16_sdwa v14, v8, v48 dst_sel:DWORD dst_unused:UNUSED_PAD src0_sel:WORD_1 src1_sel:DWORD
	v_fma_f16 v14, v8, v40, v14
	v_mul_f16_sdwa v40, v8, v40 dst_sel:DWORD dst_unused:UNUSED_PAD src0_sel:WORD_1 src1_sel:DWORD
	v_lshrrev_b32_e32 v41, 16, v39
	v_lshrrev_b32_e32 v45, 16, v12
	v_fma_f16 v8, v8, v48, -v40
	v_sub_f16_e32 v13, v39, v13
	v_sub_f16_e32 v4, v41, v4
	;; [unrolled: 1-line block ×8, first 2 shown]
	v_fma_f16 v39, v39, 2.0, -v13
	v_fma_f16 v40, v41, 2.0, -v4
	;; [unrolled: 1-line block ×8, first 2 shown]
	v_sub_f16_e32 v41, v39, v41
	v_sub_f16_e32 v3, v40, v3
	v_add_f16_e32 v5, v13, v5
	v_sub_f16_e32 v17, v4, v17
	v_sub_f16_e32 v15, v12, v15
	;; [unrolled: 1-line block ×3, first 2 shown]
	v_fma_f16 v39, v39, 2.0, -v41
	v_fma_f16 v40, v40, 2.0, -v3
	;; [unrolled: 1-line block ×6, first 2 shown]
	v_add_f16_e32 v8, v16, v8
	v_sub_f16_e32 v14, v7, v14
	v_fma_f16 v16, v16, 2.0, -v8
	v_fma_f16 v7, v7, 2.0, -v14
	v_pack_b32_f16 v39, v39, v40
	v_pack_b32_f16 v4, v13, v4
	;; [unrolled: 1-line block ×3, first 2 shown]
	ds_write_b32 v33, v39
	v_pack_b32_f16 v3, v41, v3
	ds_write2_b32 v24, v12, v4 offset0:4 offset1:11
	v_pack_b32_f16 v4, v16, v7
	v_pack_b32_f16 v5, v5, v17
	ds_write2_b32 v24, v4, v3 offset0:15 offset1:22
	v_pack_b32_f16 v3, v15, v6
	ds_write2_b32 v24, v3, v5 offset0:26 offset1:33
	v_pack_b32_f16 v3, v8, v14
	ds_write_b32 v24, v3 offset:148
	s_and_saveexec_b64 s[0:1], vcc
	s_cbranch_execz .LBB0_9
; %bb.8:
	v_mul_f16_sdwa v3, v1, v34 dst_sel:DWORD dst_unused:UNUSED_PAD src0_sel:WORD_1 src1_sel:DWORD
	v_mul_f16_sdwa v8, v1, v11 dst_sel:DWORD dst_unused:UNUSED_PAD src0_sel:WORD_1 src1_sel:DWORD
	v_fma_f16 v3, v1, v11, v3
	v_mul_f16_sdwa v4, v0, v10 dst_sel:DWORD dst_unused:UNUSED_PAD src0_sel:WORD_1 src1_sel:DWORD
	v_mul_f16_sdwa v5, v2, v19 dst_sel:DWORD dst_unused:UNUSED_PAD src0_sel:WORD_1 src1_sel:DWORD
	v_fma_f16 v1, v1, v34, -v8
	v_mul_f16_sdwa v8, v0, v38 dst_sel:DWORD dst_unused:UNUSED_PAD src0_sel:WORD_1 src1_sel:DWORD
	v_fma_f16 v4, v0, v38, -v4
	v_fma_f16 v5, v2, v37, -v5
	v_fma_f16 v0, v0, v10, v8
	v_mul_f16_sdwa v8, v2, v37 dst_sel:DWORD dst_unused:UNUSED_PAD src0_sel:WORD_1 src1_sel:DWORD
	v_sub_f16_e32 v3, v35, v3
	v_sub_f16_e32 v5, v4, v5
	v_fma_f16 v2, v2, v19, v8
	v_add_f16_e32 v6, v3, v5
	v_sub_f16_e32 v2, v0, v2
	v_fma_f16 v7, v3, 2.0, -v6
	v_sub_f16_e32 v1, v36, v1
	v_fma_f16 v3, v35, 2.0, -v3
	v_fma_f16 v0, v0, 2.0, -v2
	v_sub_f16_e32 v8, v1, v2
	v_sub_f16_e32 v0, v3, v0
	v_fma_f16 v10, v1, 2.0, -v8
	v_fma_f16 v2, v3, 2.0, -v0
	;; [unrolled: 1-line block ×4, first 2 shown]
	v_sub_f16_e32 v3, v1, v3
	v_fma_f16 v1, v1, 2.0, -v3
	v_pack_b32_f16 v1, v2, v1
	ds_write_b32 v18, v1 offset:32
	v_pack_b32_f16 v1, v7, v10
	v_pack_b32_f16 v0, v0, v3
	ds_write2_b32 v24, v1, v0 offset0:19 offset1:30
	v_pack_b32_f16 v0, v6, v8
	ds_write_b32 v24, v0 offset:164
.LBB0_9:
	s_or_b64 exec, exec, s[0:1]
	s_waitcnt lgkmcnt(0)
	; wave barrier
	s_waitcnt lgkmcnt(0)
	ds_read_b32 v0, v33
	ds_read_b32 v1, v24 offset:160
	s_mov_b32 s2, 0x745d1746
	s_mov_b32 s3, 0x3f9745d1
	v_mad_u64_u32 v[4:5], s[0:1], s6, v9, 0
	s_waitcnt lgkmcnt(1)
	v_lshrrev_b32_e32 v7, 16, v0
	v_mul_f16_sdwa v2, v32, v7 dst_sel:DWORD dst_unused:UNUSED_PAD src0_sel:WORD_1 src1_sel:DWORD
	v_fma_f16 v2, v32, v0, v2
	v_cvt_f32_f16_e32 v2, v2
	v_mad_u64_u32 v[5:6], s[0:1], s7, v9, v[5:6]
	s_movk_i32 s7, 0x1ff
	v_cvt_f64_f32_e32 v[2:3], v2
	s_movk_i32 s6, 0xffe
	v_mul_f16_sdwa v0, v32, v0 dst_sel:DWORD dst_unused:UNUSED_PAD src0_sel:WORD_1 src1_sel:DWORD
	v_fma_f16 v0, v32, v7, -v0
	v_mul_f64 v[2:3], v[2:3], s[2:3]
	v_cvt_f32_f16_e32 v7, v0
	v_mov_b32_e32 v0, 0x7c00
	s_movk_i32 s8, 0x40f
	s_mov_b32 s9, 0x8000
	v_mov_b32_e32 v14, s13
	ds_read_b32 v13, v18 offset:32
	v_and_or_b32 v2, v3, s7, v2
	v_cmp_ne_u32_e32 vcc, 0, v2
	v_lshrrev_b32_e32 v6, 8, v3
	v_bfe_u32 v8, v3, 20, 11
	v_cndmask_b32_e64 v2, 0, 1, vcc
	v_and_or_b32 v2, v6, s6, v2
	v_sub_u32_e32 v9, 0x3f1, v8
	v_or_b32_e32 v6, 0x1000, v2
	v_med3_i32 v9, v9, 0, 13
	v_lshrrev_b32_e32 v10, v9, v6
	v_lshlrev_b32_e32 v9, v9, v10
	v_cmp_ne_u32_e32 vcc, v9, v6
	v_cndmask_b32_e64 v6, 0, 1, vcc
	v_add_u32_e32 v8, 0xfffffc10, v8
	v_or_b32_e32 v6, v10, v6
	v_lshl_or_b32 v9, v8, 12, v2
	v_cmp_gt_i32_e32 vcc, 1, v8
	v_cndmask_b32_e32 v6, v9, v6, vcc
	v_and_b32_e32 v9, 7, v6
	v_cmp_lt_i32_e32 vcc, 5, v9
	v_cmp_eq_u32_e64 s[0:1], 3, v9
	v_lshrrev_b32_e32 v6, 2, v6
	s_or_b64 vcc, s[0:1], vcc
	v_addc_co_u32_e32 v9, vcc, 0, v6, vcc
	v_cvt_f64_f32_e32 v[6:7], v7
	v_cmp_gt_i32_e32 vcc, 31, v8
	v_cndmask_b32_e32 v9, v0, v9, vcc
	v_cmp_ne_u32_e32 vcc, 0, v2
	v_mul_f64 v[6:7], v[6:7], s[2:3]
	v_cndmask_b32_e64 v2, 0, 1, vcc
	v_lshl_or_b32 v2, v2, 9, v0
	v_cmp_eq_u32_e32 vcc, s8, v8
	v_cndmask_b32_e32 v2, v9, v2, vcc
	v_lshrrev_b32_e32 v3, 16, v3
	v_and_or_b32 v11, v3, s9, v2
	v_and_or_b32 v2, v7, s7, v6
	v_cmp_ne_u32_e32 vcc, 0, v2
	v_cndmask_b32_e64 v2, 0, 1, vcc
	v_lshrrev_b32_e32 v3, 8, v7
	v_bfe_u32 v6, v7, 20, 11
	v_and_or_b32 v2, v3, s6, v2
	v_sub_u32_e32 v8, 0x3f1, v6
	v_or_b32_e32 v3, 0x1000, v2
	v_med3_i32 v8, v8, 0, 13
	v_lshrrev_b32_e32 v9, v8, v3
	v_lshlrev_b32_e32 v8, v8, v9
	v_cmp_ne_u32_e32 vcc, v8, v3
	v_cndmask_b32_e64 v3, 0, 1, vcc
	v_add_u32_e32 v6, 0xfffffc10, v6
	v_or_b32_e32 v3, v9, v3
	v_lshl_or_b32 v8, v6, 12, v2
	v_cmp_gt_i32_e32 vcc, 1, v6
	v_cndmask_b32_e32 v3, v8, v3, vcc
	v_and_b32_e32 v8, 7, v3
	v_cmp_lt_i32_e32 vcc, 5, v8
	v_cmp_eq_u32_e64 s[0:1], 3, v8
	v_lshrrev_b32_e32 v3, 2, v3
	s_or_b64 vcc, s[0:1], vcc
	v_addc_co_u32_e32 v3, vcc, 0, v3, vcc
	v_cmp_gt_i32_e32 vcc, 31, v6
	v_cndmask_b32_e32 v8, v0, v3, vcc
	v_cmp_ne_u32_e32 vcc, 0, v2
	v_mad_u64_u32 v[2:3], s[0:1], s4, v30, 0
	v_cndmask_b32_e64 v9, 0, 1, vcc
	v_lshl_or_b32 v9, v9, 9, v0
	v_cmp_eq_u32_e32 vcc, s8, v6
	v_cndmask_b32_e32 v6, v8, v9, vcc
	v_mad_u64_u32 v[8:9], s[0:1], s5, v30, v[3:4]
	ds_read2_b32 v[9:10], v24 offset0:4 offset1:12
	v_lshrrev_b32_e32 v3, 16, v7
	v_and_or_b32 v6, v3, s9, v6
	v_mov_b32_e32 v3, v8
	v_and_b32_e32 v7, 0xffff, v11
	s_waitcnt lgkmcnt(0)
	v_lshrrev_b32_e32 v8, 16, v9
	v_mul_f16_sdwa v11, v31, v8 dst_sel:DWORD dst_unused:UNUSED_PAD src0_sel:WORD_1 src1_sel:DWORD
	v_fma_f16 v11, v31, v9, v11
	v_cvt_f32_f16_e32 v11, v11
	v_lshl_or_b32 v12, v6, 16, v7
	v_lshlrev_b64 v[4:5], 2, v[4:5]
	v_lshlrev_b64 v[2:3], 2, v[2:3]
	v_cvt_f64_f32_e32 v[6:7], v11
	v_add_co_u32_e32 v11, vcc, s12, v4
	v_addc_co_u32_e32 v14, vcc, v14, v5, vcc
	v_mul_f64 v[4:5], v[6:7], s[2:3]
	v_add_co_u32_e32 v6, vcc, v11, v2
	v_addc_co_u32_e32 v7, vcc, v14, v3, vcc
	v_mul_f16_sdwa v9, v31, v9 dst_sel:DWORD dst_unused:UNUSED_PAD src0_sel:WORD_1 src1_sel:DWORD
	v_fma_f16 v8, v31, v8, -v9
	v_cvt_f32_f16_e32 v8, v8
	v_and_or_b32 v2, v5, s7, v4
	v_cmp_ne_u32_e32 vcc, 0, v2
	v_cndmask_b32_e64 v2, 0, 1, vcc
	v_lshrrev_b32_e32 v3, 8, v5
	v_and_or_b32 v4, v3, s6, v2
	v_bfe_u32 v3, v5, 20, 11
	v_sub_u32_e32 v14, 0x3f1, v3
	v_or_b32_e32 v2, 0x1000, v4
	v_med3_i32 v14, v14, 0, 13
	v_lshrrev_b32_e32 v15, v14, v2
	v_lshlrev_b32_e32 v14, v14, v15
	v_cmp_ne_u32_e32 vcc, v14, v2
	v_cndmask_b32_e64 v2, 0, 1, vcc
	v_add_u32_e32 v14, 0xfffffc10, v3
	v_or_b32_e32 v2, v15, v2
	v_lshl_or_b32 v3, v14, 12, v4
	v_cmp_gt_i32_e32 vcc, 1, v14
	v_cndmask_b32_e32 v2, v3, v2, vcc
	v_and_b32_e32 v3, 7, v2
	v_cmp_lt_i32_e32 vcc, 5, v3
	v_cmp_eq_u32_e64 s[0:1], 3, v3
	v_lshrrev_b32_e32 v9, 2, v2
	v_cvt_f64_f32_e32 v[2:3], v8
	s_or_b64 vcc, s[0:1], vcc
	v_addc_co_u32_e32 v8, vcc, 0, v9, vcc
	v_mul_f64 v[2:3], v[2:3], s[2:3]
	v_cmp_gt_i32_e32 vcc, 31, v14
	v_cndmask_b32_e32 v8, v0, v8, vcc
	v_cmp_ne_u32_e32 vcc, 0, v4
	v_cndmask_b32_e64 v4, 0, 1, vcc
	v_lshl_or_b32 v4, v4, 9, v0
	v_cmp_eq_u32_e32 vcc, s8, v14
	v_cndmask_b32_e32 v4, v8, v4, vcc
	v_and_or_b32 v2, v3, s7, v2
	v_lshrrev_b32_e32 v5, 16, v5
	v_cmp_ne_u32_e32 vcc, 0, v2
	v_and_or_b32 v4, v5, s9, v4
	v_cndmask_b32_e64 v2, 0, 1, vcc
	v_lshrrev_b32_e32 v5, 8, v3
	v_bfe_u32 v8, v3, 20, 11
	v_and_or_b32 v2, v5, s6, v2
	v_sub_u32_e32 v9, 0x3f1, v8
	v_or_b32_e32 v5, 0x1000, v2
	v_med3_i32 v9, v9, 0, 13
	v_lshrrev_b32_e32 v14, v9, v5
	v_lshlrev_b32_e32 v9, v9, v14
	v_cmp_ne_u32_e32 vcc, v9, v5
	v_cndmask_b32_e64 v5, 0, 1, vcc
	v_add_u32_e32 v8, 0xfffffc10, v8
	v_or_b32_e32 v5, v14, v5
	v_lshl_or_b32 v9, v8, 12, v2
	v_cmp_gt_i32_e32 vcc, 1, v8
	v_cndmask_b32_e32 v5, v9, v5, vcc
	v_and_b32_e32 v9, 7, v5
	v_cmp_lt_i32_e32 vcc, 5, v9
	v_cmp_eq_u32_e64 s[0:1], 3, v9
	v_lshrrev_b32_e32 v9, 16, v13
	v_lshrrev_b32_e32 v5, 2, v5
	s_or_b64 vcc, s[0:1], vcc
	v_mul_f16_sdwa v14, v29, v9 dst_sel:DWORD dst_unused:UNUSED_PAD src0_sel:WORD_1 src1_sel:DWORD
	v_addc_co_u32_e32 v5, vcc, 0, v5, vcc
	v_fma_f16 v14, v29, v13, v14
	v_cmp_gt_i32_e32 vcc, 31, v8
	v_cvt_f32_f16_e32 v14, v14
	v_cndmask_b32_e32 v5, v0, v5, vcc
	v_cmp_ne_u32_e32 vcc, 0, v2
	v_cndmask_b32_e64 v2, 0, 1, vcc
	v_lshl_or_b32 v2, v2, 9, v0
	v_cmp_eq_u32_e32 vcc, s8, v8
	v_cndmask_b32_e32 v5, v5, v2, vcc
	v_lshrrev_b32_e32 v8, 16, v3
	v_cvt_f64_f32_e32 v[2:3], v14
	v_and_or_b32 v5, v8, s9, v5
	v_and_b32_e32 v4, 0xffff, v4
	v_lshl_or_b32 v8, v5, 16, v4
	v_mul_f64 v[3:4], v[2:3], s[2:3]
	s_lshl_b64 s[4:5], s[4:5], 4
	v_mov_b32_e32 v2, s5
	v_add_co_u32_e32 v5, vcc, s4, v6
	global_store_dword v[6:7], v12, off
	v_addc_co_u32_e32 v6, vcc, v7, v2, vcc
	v_and_or_b32 v3, v4, s7, v3
	v_cmp_ne_u32_e32 vcc, 0, v3
	global_store_dword v[5:6], v8, off
	v_cndmask_b32_e64 v3, 0, 1, vcc
	v_lshrrev_b32_e32 v7, 8, v4
	v_bfe_u32 v8, v4, 20, 11
	v_and_or_b32 v3, v7, s6, v3
	v_sub_u32_e32 v14, 0x3f1, v8
	v_or_b32_e32 v7, 0x1000, v3
	v_med3_i32 v14, v14, 0, 13
	v_lshrrev_b32_e32 v15, v14, v7
	v_lshlrev_b32_e32 v14, v14, v15
	v_mul_f16_sdwa v13, v29, v13 dst_sel:DWORD dst_unused:UNUSED_PAD src0_sel:WORD_1 src1_sel:DWORD
	v_cmp_ne_u32_e32 vcc, v14, v7
	v_fma_f16 v9, v29, v9, -v13
	v_cndmask_b32_e64 v7, 0, 1, vcc
	v_add_u32_e32 v14, 0xfffffc10, v8
	v_cvt_f32_f16_e32 v9, v9
	v_or_b32_e32 v7, v15, v7
	v_lshl_or_b32 v8, v14, 12, v3
	v_cmp_gt_i32_e32 vcc, 1, v14
	v_cndmask_b32_e32 v7, v8, v7, vcc
	v_and_b32_e32 v8, 7, v7
	v_cmp_lt_i32_e32 vcc, 5, v8
	v_cmp_eq_u32_e64 s[0:1], 3, v8
	v_lshrrev_b32_e32 v13, 2, v7
	v_cvt_f64_f32_e32 v[7:8], v9
	s_or_b64 vcc, s[0:1], vcc
	v_addc_co_u32_e32 v9, vcc, 0, v13, vcc
	v_mul_f64 v[7:8], v[7:8], s[2:3]
	v_cmp_gt_i32_e32 vcc, 31, v14
	v_cndmask_b32_e32 v9, v0, v9, vcc
	v_cmp_ne_u32_e32 vcc, 0, v3
	v_cndmask_b32_e64 v3, 0, 1, vcc
	v_lshl_or_b32 v3, v3, 9, v0
	v_cmp_eq_u32_e32 vcc, s8, v14
	v_cndmask_b32_e32 v3, v9, v3, vcc
	v_lshrrev_b32_e32 v4, 16, v4
	v_and_or_b32 v9, v4, s9, v3
	v_and_or_b32 v3, v8, s7, v7
	v_cmp_ne_u32_e32 vcc, 0, v3
	v_cndmask_b32_e64 v3, 0, 1, vcc
	v_lshrrev_b32_e32 v4, 8, v8
	v_bfe_u32 v7, v8, 20, 11
	v_and_or_b32 v3, v4, s6, v3
	v_sub_u32_e32 v13, 0x3f1, v7
	v_or_b32_e32 v4, 0x1000, v3
	v_med3_i32 v13, v13, 0, 13
	v_lshrrev_b32_e32 v14, v13, v4
	v_lshlrev_b32_e32 v13, v13, v14
	v_cmp_ne_u32_e32 vcc, v13, v4
	v_cndmask_b32_e64 v4, 0, 1, vcc
	v_add_u32_e32 v7, 0xfffffc10, v7
	v_or_b32_e32 v4, v14, v4
	v_lshl_or_b32 v13, v7, 12, v3
	v_cmp_gt_i32_e32 vcc, 1, v7
	v_cndmask_b32_e32 v4, v13, v4, vcc
	v_and_b32_e32 v13, 7, v4
	v_cmp_lt_i32_e32 vcc, 5, v13
	v_cmp_eq_u32_e64 s[0:1], 3, v13
	v_lshrrev_b32_e32 v4, 2, v4
	s_or_b64 vcc, s[0:1], vcc
	v_addc_co_u32_e32 v4, vcc, 0, v4, vcc
	v_cmp_gt_i32_e32 vcc, 31, v7
	v_lshrrev_b32_e32 v14, 16, v10
	v_cndmask_b32_e32 v13, v0, v4, vcc
	v_mul_f16_sdwa v4, v28, v14 dst_sel:DWORD dst_unused:UNUSED_PAD src0_sel:WORD_1 src1_sel:DWORD
	v_fma_f16 v4, v28, v10, v4
	v_cvt_f32_f16_e32 v4, v4
	v_cmp_ne_u32_e32 vcc, 0, v3
	v_cndmask_b32_e64 v3, 0, 1, vcc
	v_lshl_or_b32 v15, v3, 9, v0
	v_cvt_f64_f32_e32 v[3:4], v4
	v_cmp_eq_u32_e32 vcc, s8, v7
	v_cndmask_b32_e32 v7, v13, v15, vcc
	v_lshrrev_b32_e32 v8, 16, v8
	v_mul_f64 v[3:4], v[3:4], s[2:3]
	v_add_co_u32_e32 v5, vcc, s4, v5
	v_and_or_b32 v7, v8, s9, v7
	v_and_b32_e32 v8, 0xffff, v9
	v_addc_co_u32_e32 v6, vcc, v6, v2, vcc
	v_lshl_or_b32 v7, v7, 16, v8
	v_and_or_b32 v3, v4, s7, v3
	v_cmp_ne_u32_e32 vcc, 0, v3
	global_store_dword v[5:6], v7, off
	v_cndmask_b32_e64 v3, 0, 1, vcc
	v_lshrrev_b32_e32 v7, 8, v4
	v_bfe_u32 v8, v4, 20, 11
	v_and_or_b32 v3, v7, s6, v3
	v_sub_u32_e32 v9, 0x3f1, v8
	v_or_b32_e32 v7, 0x1000, v3
	v_med3_i32 v9, v9, 0, 13
	v_lshrrev_b32_e32 v13, v9, v7
	v_lshlrev_b32_e32 v9, v9, v13
	v_mul_f16_sdwa v10, v28, v10 dst_sel:DWORD dst_unused:UNUSED_PAD src0_sel:WORD_1 src1_sel:DWORD
	v_cmp_ne_u32_e32 vcc, v9, v7
	v_fma_f16 v10, v28, v14, -v10
	v_cndmask_b32_e64 v7, 0, 1, vcc
	v_add_u32_e32 v9, 0xfffffc10, v8
	v_cvt_f32_f16_e32 v10, v10
	v_or_b32_e32 v7, v13, v7
	v_lshl_or_b32 v8, v9, 12, v3
	v_cmp_gt_i32_e32 vcc, 1, v9
	v_cndmask_b32_e32 v7, v8, v7, vcc
	v_and_b32_e32 v8, 7, v7
	v_cmp_lt_i32_e32 vcc, 5, v8
	v_cmp_eq_u32_e64 s[0:1], 3, v8
	v_lshrrev_b32_e32 v13, 2, v7
	v_cvt_f64_f32_e32 v[7:8], v10
	s_or_b64 vcc, s[0:1], vcc
	v_addc_co_u32_e32 v10, vcc, 0, v13, vcc
	v_mul_f64 v[7:8], v[7:8], s[2:3]
	v_cmp_gt_i32_e32 vcc, 31, v9
	v_cndmask_b32_e32 v10, v0, v10, vcc
	v_cmp_ne_u32_e32 vcc, 0, v3
	v_cndmask_b32_e64 v3, 0, 1, vcc
	v_lshl_or_b32 v3, v3, 9, v0
	v_cmp_eq_u32_e32 vcc, s8, v9
	v_cndmask_b32_e32 v3, v10, v3, vcc
	v_lshrrev_b32_e32 v4, 16, v4
	v_and_or_b32 v9, v4, s9, v3
	v_and_or_b32 v3, v8, s7, v7
	v_cmp_ne_u32_e32 vcc, 0, v3
	v_cndmask_b32_e64 v3, 0, 1, vcc
	v_lshrrev_b32_e32 v4, 8, v8
	v_bfe_u32 v7, v8, 20, 11
	v_and_or_b32 v3, v4, s6, v3
	v_sub_u32_e32 v10, 0x3f1, v7
	v_or_b32_e32 v4, 0x1000, v3
	v_med3_i32 v10, v10, 0, 13
	v_lshrrev_b32_e32 v13, v10, v4
	v_lshlrev_b32_e32 v10, v10, v13
	v_cmp_ne_u32_e32 vcc, v10, v4
	v_cndmask_b32_e64 v4, 0, 1, vcc
	v_add_u32_e32 v7, 0xfffffc10, v7
	v_or_b32_e32 v4, v13, v4
	v_lshl_or_b32 v10, v7, 12, v3
	v_cmp_gt_i32_e32 vcc, 1, v7
	ds_read2_b32 v[11:12], v24 offset0:16 offset1:20
	v_cndmask_b32_e32 v4, v10, v4, vcc
	v_and_b32_e32 v10, 7, v4
	v_cmp_lt_i32_e32 vcc, 5, v10
	v_cmp_eq_u32_e64 s[0:1], 3, v10
	v_lshrrev_b32_e32 v4, 2, v4
	s_or_b64 vcc, s[0:1], vcc
	v_addc_co_u32_e32 v4, vcc, 0, v4, vcc
	v_cmp_gt_i32_e32 vcc, 31, v7
	s_waitcnt lgkmcnt(0)
	v_lshrrev_b32_e32 v13, 16, v11
	v_cndmask_b32_e32 v10, v0, v4, vcc
	v_mul_f16_sdwa v4, v27, v13 dst_sel:DWORD dst_unused:UNUSED_PAD src0_sel:WORD_1 src1_sel:DWORD
	v_fma_f16 v4, v27, v11, v4
	v_cvt_f32_f16_e32 v4, v4
	v_cmp_ne_u32_e32 vcc, 0, v3
	v_cndmask_b32_e64 v3, 0, 1, vcc
	v_lshl_or_b32 v14, v3, 9, v0
	v_cvt_f64_f32_e32 v[3:4], v4
	v_cmp_eq_u32_e32 vcc, s8, v7
	v_cndmask_b32_e32 v7, v10, v14, vcc
	v_lshrrev_b32_e32 v8, 16, v8
	v_mul_f64 v[3:4], v[3:4], s[2:3]
	v_add_co_u32_e32 v5, vcc, s4, v5
	v_and_or_b32 v7, v8, s9, v7
	v_and_b32_e32 v8, 0xffff, v9
	v_addc_co_u32_e32 v6, vcc, v6, v2, vcc
	v_lshl_or_b32 v7, v7, 16, v8
	v_and_or_b32 v3, v4, s7, v3
	v_cmp_ne_u32_e32 vcc, 0, v3
	global_store_dword v[5:6], v7, off
	v_cndmask_b32_e64 v3, 0, 1, vcc
	v_lshrrev_b32_e32 v7, 8, v4
	v_bfe_u32 v8, v4, 20, 11
	v_and_or_b32 v3, v7, s6, v3
	v_sub_u32_e32 v9, 0x3f1, v8
	v_or_b32_e32 v7, 0x1000, v3
	v_med3_i32 v9, v9, 0, 13
	v_lshrrev_b32_e32 v10, v9, v7
	v_lshlrev_b32_e32 v9, v9, v10
	v_cmp_ne_u32_e32 vcc, v9, v7
	v_cndmask_b32_e64 v7, 0, 1, vcc
	v_or_b32_e32 v7, v10, v7
	v_mul_f16_sdwa v10, v27, v11 dst_sel:DWORD dst_unused:UNUSED_PAD src0_sel:WORD_1 src1_sel:DWORD
	v_fma_f16 v10, v27, v13, -v10
	v_add_u32_e32 v9, 0xfffffc10, v8
	v_cvt_f32_f16_e32 v10, v10
	v_lshl_or_b32 v8, v9, 12, v3
	v_cmp_gt_i32_e32 vcc, 1, v9
	v_cndmask_b32_e32 v7, v8, v7, vcc
	v_and_b32_e32 v8, 7, v7
	v_cmp_lt_i32_e32 vcc, 5, v8
	v_cmp_eq_u32_e64 s[0:1], 3, v8
	v_lshrrev_b32_e32 v11, 2, v7
	v_cvt_f64_f32_e32 v[7:8], v10
	s_or_b64 vcc, s[0:1], vcc
	v_addc_co_u32_e32 v10, vcc, 0, v11, vcc
	v_mul_f64 v[7:8], v[7:8], s[2:3]
	v_cmp_gt_i32_e32 vcc, 31, v9
	v_cndmask_b32_e32 v10, v0, v10, vcc
	v_cmp_ne_u32_e32 vcc, 0, v3
	v_cndmask_b32_e64 v3, 0, 1, vcc
	v_lshl_or_b32 v3, v3, 9, v0
	v_cmp_eq_u32_e32 vcc, s8, v9
	v_cndmask_b32_e32 v3, v10, v3, vcc
	v_lshrrev_b32_e32 v4, 16, v4
	v_and_or_b32 v9, v4, s9, v3
	v_and_or_b32 v3, v8, s7, v7
	v_cmp_ne_u32_e32 vcc, 0, v3
	v_cndmask_b32_e64 v3, 0, 1, vcc
	v_lshrrev_b32_e32 v4, 8, v8
	v_bfe_u32 v7, v8, 20, 11
	v_and_or_b32 v3, v4, s6, v3
	v_sub_u32_e32 v10, 0x3f1, v7
	v_or_b32_e32 v4, 0x1000, v3
	v_med3_i32 v10, v10, 0, 13
	v_lshrrev_b32_e32 v11, v10, v4
	v_lshlrev_b32_e32 v10, v10, v11
	v_cmp_ne_u32_e32 vcc, v10, v4
	v_cndmask_b32_e64 v4, 0, 1, vcc
	v_add_u32_e32 v7, 0xfffffc10, v7
	v_or_b32_e32 v4, v11, v4
	v_lshl_or_b32 v10, v7, 12, v3
	v_cmp_gt_i32_e32 vcc, 1, v7
	v_cndmask_b32_e32 v4, v10, v4, vcc
	v_and_b32_e32 v10, 7, v4
	v_cmp_lt_i32_e32 vcc, 5, v10
	v_cmp_eq_u32_e64 s[0:1], 3, v10
	v_lshrrev_b32_e32 v4, 2, v4
	s_or_b64 vcc, s[0:1], vcc
	v_addc_co_u32_e32 v4, vcc, 0, v4, vcc
	v_cmp_gt_i32_e32 vcc, 31, v7
	v_lshrrev_b32_e32 v11, 16, v12
	v_cndmask_b32_e32 v10, v0, v4, vcc
	v_mul_f16_sdwa v4, v26, v11 dst_sel:DWORD dst_unused:UNUSED_PAD src0_sel:WORD_1 src1_sel:DWORD
	v_fma_f16 v4, v26, v12, v4
	v_cvt_f32_f16_e32 v4, v4
	v_cmp_ne_u32_e32 vcc, 0, v3
	v_cndmask_b32_e64 v3, 0, 1, vcc
	v_lshl_or_b32 v13, v3, 9, v0
	v_cvt_f64_f32_e32 v[3:4], v4
	v_cmp_eq_u32_e32 vcc, s8, v7
	v_cndmask_b32_e32 v7, v10, v13, vcc
	v_lshrrev_b32_e32 v8, 16, v8
	v_mul_f64 v[3:4], v[3:4], s[2:3]
	v_add_co_u32_e32 v5, vcc, s4, v5
	v_and_or_b32 v7, v8, s9, v7
	v_and_b32_e32 v8, 0xffff, v9
	v_addc_co_u32_e32 v6, vcc, v6, v2, vcc
	v_lshl_or_b32 v7, v7, 16, v8
	v_and_or_b32 v3, v4, s7, v3
	v_cmp_ne_u32_e32 vcc, 0, v3
	global_store_dword v[5:6], v7, off
	v_cndmask_b32_e64 v3, 0, 1, vcc
	v_lshrrev_b32_e32 v7, 8, v4
	v_bfe_u32 v8, v4, 20, 11
	v_and_or_b32 v3, v7, s6, v3
	v_sub_u32_e32 v9, 0x3f1, v8
	v_or_b32_e32 v7, 0x1000, v3
	v_med3_i32 v9, v9, 0, 13
	v_lshrrev_b32_e32 v10, v9, v7
	v_lshlrev_b32_e32 v9, v9, v10
	v_cmp_ne_u32_e32 vcc, v9, v7
	v_cndmask_b32_e64 v7, 0, 1, vcc
	v_or_b32_e32 v7, v10, v7
	v_mul_f16_sdwa v10, v26, v12 dst_sel:DWORD dst_unused:UNUSED_PAD src0_sel:WORD_1 src1_sel:DWORD
	v_fma_f16 v10, v26, v11, -v10
	v_add_u32_e32 v9, 0xfffffc10, v8
	v_cvt_f32_f16_e32 v10, v10
	v_lshl_or_b32 v8, v9, 12, v3
	v_cmp_gt_i32_e32 vcc, 1, v9
	v_cndmask_b32_e32 v7, v8, v7, vcc
	v_and_b32_e32 v8, 7, v7
	v_cmp_lt_i32_e32 vcc, 5, v8
	v_cmp_eq_u32_e64 s[0:1], 3, v8
	v_lshrrev_b32_e32 v11, 2, v7
	v_cvt_f64_f32_e32 v[7:8], v10
	s_or_b64 vcc, s[0:1], vcc
	v_addc_co_u32_e32 v10, vcc, 0, v11, vcc
	v_mul_f64 v[7:8], v[7:8], s[2:3]
	v_cmp_gt_i32_e32 vcc, 31, v9
	v_cndmask_b32_e32 v10, v0, v10, vcc
	v_cmp_ne_u32_e32 vcc, 0, v3
	v_cndmask_b32_e64 v3, 0, 1, vcc
	v_lshl_or_b32 v3, v3, 9, v0
	v_cmp_eq_u32_e32 vcc, s8, v9
	v_cndmask_b32_e32 v3, v10, v3, vcc
	v_lshrrev_b32_e32 v4, 16, v4
	v_and_or_b32 v11, v4, s9, v3
	v_and_or_b32 v3, v8, s7, v7
	v_cmp_ne_u32_e32 vcc, 0, v3
	v_cndmask_b32_e64 v3, 0, 1, vcc
	v_lshrrev_b32_e32 v4, 8, v8
	v_and_or_b32 v7, v4, s6, v3
	v_bfe_u32 v4, v8, 20, 11
	v_sub_u32_e32 v9, 0x3f1, v4
	v_or_b32_e32 v3, 0x1000, v7
	v_med3_i32 v9, v9, 0, 13
	v_lshrrev_b32_e32 v10, v9, v3
	v_lshlrev_b32_e32 v9, v9, v10
	v_cmp_ne_u32_e32 vcc, v9, v3
	v_cndmask_b32_e64 v3, 0, 1, vcc
	v_add_u32_e32 v12, 0xfffffc10, v4
	v_or_b32_e32 v3, v10, v3
	v_lshl_or_b32 v4, v12, 12, v7
	v_cmp_gt_i32_e32 vcc, 1, v12
	v_cndmask_b32_e32 v3, v4, v3, vcc
	v_and_b32_e32 v4, 7, v3
	v_cmp_lt_i32_e32 vcc, 5, v4
	v_cmp_eq_u32_e64 s[0:1], 3, v4
	v_lshrrev_b32_e32 v9, 2, v3
	ds_read2_b32 v[3:4], v24 offset0:24 offset1:28
	s_or_b64 vcc, s[0:1], vcc
	v_addc_co_u32_e32 v9, vcc, 0, v9, vcc
	v_cmp_gt_i32_e32 vcc, 31, v12
	s_waitcnt lgkmcnt(0)
	v_lshrrev_b32_e32 v14, 16, v3
	v_cndmask_b32_e32 v13, v0, v9, vcc
	v_mul_f16_sdwa v9, v25, v14 dst_sel:DWORD dst_unused:UNUSED_PAD src0_sel:WORD_1 src1_sel:DWORD
	v_fma_f16 v9, v25, v3, v9
	v_cvt_f32_f16_e32 v9, v9
	v_cmp_ne_u32_e32 vcc, 0, v7
	v_cndmask_b32_e64 v7, 0, 1, vcc
	v_lshl_or_b32 v7, v7, 9, v0
	v_cvt_f64_f32_e32 v[9:10], v9
	v_cmp_eq_u32_e32 vcc, s8, v12
	v_cndmask_b32_e32 v7, v13, v7, vcc
	v_lshrrev_b32_e32 v8, 16, v8
	v_and_or_b32 v12, v8, s9, v7
	v_mul_f64 v[7:8], v[9:10], s[2:3]
	v_add_co_u32_e32 v5, vcc, s4, v5
	v_and_b32_e32 v9, 0xffff, v11
	v_addc_co_u32_e32 v6, vcc, v6, v2, vcc
	v_lshl_or_b32 v9, v12, 16, v9
	global_store_dword v[5:6], v9, off
	v_and_or_b32 v7, v8, s7, v7
	v_cmp_ne_u32_e32 vcc, 0, v7
	v_cndmask_b32_e64 v7, 0, 1, vcc
	v_lshrrev_b32_e32 v9, 8, v8
	v_bfe_u32 v10, v8, 20, 11
	v_and_or_b32 v7, v9, s6, v7
	v_sub_u32_e32 v11, 0x3f1, v10
	v_or_b32_e32 v9, 0x1000, v7
	v_med3_i32 v11, v11, 0, 13
	v_lshrrev_b32_e32 v12, v11, v9
	v_lshlrev_b32_e32 v11, v11, v12
	v_mul_f16_sdwa v3, v25, v3 dst_sel:DWORD dst_unused:UNUSED_PAD src0_sel:WORD_1 src1_sel:DWORD
	v_cmp_ne_u32_e32 vcc, v11, v9
	v_fma_f16 v3, v25, v14, -v3
	v_cndmask_b32_e64 v9, 0, 1, vcc
	v_add_u32_e32 v11, 0xfffffc10, v10
	v_cvt_f32_f16_e32 v3, v3
	v_or_b32_e32 v9, v12, v9
	v_lshl_or_b32 v10, v11, 12, v7
	v_cmp_gt_i32_e32 vcc, 1, v11
	v_cndmask_b32_e32 v9, v10, v9, vcc
	v_and_b32_e32 v10, 7, v9
	v_cmp_lt_i32_e32 vcc, 5, v10
	v_cmp_eq_u32_e64 s[0:1], 3, v10
	v_lshrrev_b32_e32 v12, 2, v9
	v_cvt_f64_f32_e32 v[9:10], v3
	s_or_b64 vcc, s[0:1], vcc
	v_addc_co_u32_e32 v3, vcc, 0, v12, vcc
	v_mul_f64 v[9:10], v[9:10], s[2:3]
	v_cmp_gt_i32_e32 vcc, 31, v11
	v_cndmask_b32_e32 v3, v0, v3, vcc
	v_cmp_ne_u32_e32 vcc, 0, v7
	v_cndmask_b32_e64 v7, 0, 1, vcc
	v_lshl_or_b32 v7, v7, 9, v0
	v_cmp_eq_u32_e32 vcc, s8, v11
	v_cndmask_b32_e32 v3, v3, v7, vcc
	v_lshrrev_b32_e32 v7, 16, v8
	v_and_or_b32 v3, v7, s9, v3
	v_and_or_b32 v7, v10, s7, v9
	v_cmp_ne_u32_e32 vcc, 0, v7
	v_cndmask_b32_e64 v7, 0, 1, vcc
	v_lshrrev_b32_e32 v8, 8, v10
	v_bfe_u32 v9, v10, 20, 11
	v_and_or_b32 v7, v8, s6, v7
	v_sub_u32_e32 v11, 0x3f1, v9
	v_or_b32_e32 v8, 0x1000, v7
	v_med3_i32 v11, v11, 0, 13
	v_lshrrev_b32_e32 v12, v11, v8
	v_lshlrev_b32_e32 v11, v11, v12
	v_cmp_ne_u32_e32 vcc, v11, v8
	v_cndmask_b32_e64 v8, 0, 1, vcc
	v_add_u32_e32 v9, 0xfffffc10, v9
	v_or_b32_e32 v8, v12, v8
	v_lshl_or_b32 v11, v9, 12, v7
	v_cmp_gt_i32_e32 vcc, 1, v9
	v_cndmask_b32_e32 v8, v11, v8, vcc
	v_and_b32_e32 v11, 7, v8
	v_cmp_lt_i32_e32 vcc, 5, v11
	v_cmp_eq_u32_e64 s[0:1], 3, v11
	v_lshrrev_b32_e32 v8, 2, v8
	s_or_b64 vcc, s[0:1], vcc
	v_addc_co_u32_e32 v8, vcc, 0, v8, vcc
	v_cmp_gt_i32_e32 vcc, 31, v9
	v_lshrrev_b32_e32 v12, 16, v4
	v_cndmask_b32_e32 v11, v0, v8, vcc
	v_mul_f16_sdwa v8, v23, v12 dst_sel:DWORD dst_unused:UNUSED_PAD src0_sel:WORD_1 src1_sel:DWORD
	v_fma_f16 v8, v23, v4, v8
	v_cvt_f32_f16_e32 v8, v8
	v_cmp_ne_u32_e32 vcc, 0, v7
	v_cndmask_b32_e64 v7, 0, 1, vcc
	v_lshl_or_b32 v13, v7, 9, v0
	v_cvt_f64_f32_e32 v[7:8], v8
	v_cmp_eq_u32_e32 vcc, s8, v9
	v_cndmask_b32_e32 v9, v11, v13, vcc
	v_lshrrev_b32_e32 v10, 16, v10
	v_mul_f64 v[7:8], v[7:8], s[2:3]
	v_and_or_b32 v9, v10, s9, v9
	v_and_b32_e32 v3, 0xffff, v3
	v_add_co_u32_e32 v5, vcc, s4, v5
	v_lshl_or_b32 v3, v9, 16, v3
	v_addc_co_u32_e32 v6, vcc, v6, v2, vcc
	global_store_dword v[5:6], v3, off
	v_and_or_b32 v3, v8, s7, v7
	v_cmp_ne_u32_e32 vcc, 0, v3
	v_cndmask_b32_e64 v3, 0, 1, vcc
	v_lshrrev_b32_e32 v7, 8, v8
	v_bfe_u32 v9, v8, 20, 11
	v_and_or_b32 v7, v7, s6, v3
	v_sub_u32_e32 v10, 0x3f1, v9
	v_or_b32_e32 v3, 0x1000, v7
	v_med3_i32 v10, v10, 0, 13
	v_lshrrev_b32_e32 v11, v10, v3
	v_lshlrev_b32_e32 v10, v10, v11
	v_mul_f16_sdwa v4, v23, v4 dst_sel:DWORD dst_unused:UNUSED_PAD src0_sel:WORD_1 src1_sel:DWORD
	v_cmp_ne_u32_e32 vcc, v10, v3
	v_fma_f16 v4, v23, v12, -v4
	v_cndmask_b32_e64 v3, 0, 1, vcc
	v_add_u32_e32 v9, 0xfffffc10, v9
	v_cvt_f32_f16_e32 v4, v4
	v_or_b32_e32 v3, v11, v3
	v_lshl_or_b32 v10, v9, 12, v7
	v_cmp_gt_i32_e32 vcc, 1, v9
	v_cndmask_b32_e32 v3, v10, v3, vcc
	v_and_b32_e32 v10, 7, v3
	v_cmp_lt_i32_e32 vcc, 5, v10
	v_cmp_eq_u32_e64 s[0:1], 3, v10
	v_lshrrev_b32_e32 v10, 2, v3
	v_cvt_f64_f32_e32 v[3:4], v4
	s_or_b64 vcc, s[0:1], vcc
	v_addc_co_u32_e32 v10, vcc, 0, v10, vcc
	v_mul_f64 v[3:4], v[3:4], s[2:3]
	v_cmp_gt_i32_e32 vcc, 31, v9
	v_cndmask_b32_e32 v10, v0, v10, vcc
	v_cmp_ne_u32_e32 vcc, 0, v7
	v_cndmask_b32_e64 v7, 0, 1, vcc
	v_lshl_or_b32 v7, v7, 9, v0
	v_cmp_eq_u32_e32 vcc, s8, v9
	v_cndmask_b32_e32 v7, v10, v7, vcc
	v_and_or_b32 v3, v4, s7, v3
	v_lshrrev_b32_e32 v8, 16, v8
	v_cmp_ne_u32_e32 vcc, 0, v3
	v_and_or_b32 v11, v8, s9, v7
	v_cndmask_b32_e64 v3, 0, 1, vcc
	v_lshrrev_b32_e32 v7, 8, v4
	v_bfe_u32 v8, v4, 20, 11
	v_and_or_b32 v3, v7, s6, v3
	v_sub_u32_e32 v9, 0x3f1, v8
	v_or_b32_e32 v7, 0x1000, v3
	v_med3_i32 v9, v9, 0, 13
	v_lshrrev_b32_e32 v10, v9, v7
	v_lshlrev_b32_e32 v9, v9, v10
	v_cmp_ne_u32_e32 vcc, v9, v7
	v_cndmask_b32_e64 v7, 0, 1, vcc
	v_add_u32_e32 v12, 0xfffffc10, v8
	v_or_b32_e32 v7, v10, v7
	v_lshl_or_b32 v8, v12, 12, v3
	v_cmp_gt_i32_e32 vcc, 1, v12
	v_cndmask_b32_e32 v7, v8, v7, vcc
	v_and_b32_e32 v8, 7, v7
	v_cmp_lt_i32_e32 vcc, 5, v8
	v_cmp_eq_u32_e64 s[0:1], 3, v8
	v_lshrrev_b32_e32 v9, 2, v7
	ds_read2_b32 v[7:8], v24 offset0:32 offset1:36
	s_or_b64 vcc, s[0:1], vcc
	v_addc_co_u32_e32 v9, vcc, 0, v9, vcc
	v_cmp_gt_i32_e32 vcc, 31, v12
	s_waitcnt lgkmcnt(0)
	v_lshrrev_b32_e32 v14, 16, v7
	v_cndmask_b32_e32 v13, v0, v9, vcc
	v_mul_f16_sdwa v9, v22, v14 dst_sel:DWORD dst_unused:UNUSED_PAD src0_sel:WORD_1 src1_sel:DWORD
	v_fma_f16 v9, v22, v7, v9
	v_cvt_f32_f16_e32 v9, v9
	v_cmp_ne_u32_e32 vcc, 0, v3
	v_cndmask_b32_e64 v3, 0, 1, vcc
	v_lshl_or_b32 v3, v3, 9, v0
	v_cvt_f64_f32_e32 v[9:10], v9
	v_cmp_eq_u32_e32 vcc, s8, v12
	v_cndmask_b32_e32 v3, v13, v3, vcc
	v_lshrrev_b32_e32 v4, 16, v4
	v_and_or_b32 v12, v4, s9, v3
	v_mul_f64 v[3:4], v[9:10], s[2:3]
	v_add_co_u32_e32 v5, vcc, s4, v5
	v_and_b32_e32 v9, 0xffff, v11
	v_addc_co_u32_e32 v6, vcc, v6, v2, vcc
	v_lshl_or_b32 v9, v12, 16, v9
	global_store_dword v[5:6], v9, off
	v_and_or_b32 v3, v4, s7, v3
	v_cmp_ne_u32_e32 vcc, 0, v3
	v_cndmask_b32_e64 v3, 0, 1, vcc
	v_lshrrev_b32_e32 v9, 8, v4
	v_bfe_u32 v10, v4, 20, 11
	v_and_or_b32 v3, v9, s6, v3
	v_sub_u32_e32 v11, 0x3f1, v10
	v_or_b32_e32 v9, 0x1000, v3
	v_med3_i32 v11, v11, 0, 13
	v_lshrrev_b32_e32 v12, v11, v9
	v_lshlrev_b32_e32 v11, v11, v12
	v_mul_f16_sdwa v7, v22, v7 dst_sel:DWORD dst_unused:UNUSED_PAD src0_sel:WORD_1 src1_sel:DWORD
	v_cmp_ne_u32_e32 vcc, v11, v9
	v_fma_f16 v7, v22, v14, -v7
	v_cndmask_b32_e64 v9, 0, 1, vcc
	v_add_u32_e32 v11, 0xfffffc10, v10
	v_cvt_f32_f16_e32 v7, v7
	v_or_b32_e32 v9, v12, v9
	v_lshl_or_b32 v10, v11, 12, v3
	v_cmp_gt_i32_e32 vcc, 1, v11
	v_cndmask_b32_e32 v9, v10, v9, vcc
	v_and_b32_e32 v10, 7, v9
	v_cmp_lt_i32_e32 vcc, 5, v10
	v_cmp_eq_u32_e64 s[0:1], 3, v10
	v_lshrrev_b32_e32 v12, 2, v9
	v_cvt_f64_f32_e32 v[9:10], v7
	s_or_b64 vcc, s[0:1], vcc
	v_addc_co_u32_e32 v7, vcc, 0, v12, vcc
	v_mul_f64 v[9:10], v[9:10], s[2:3]
	v_cmp_gt_i32_e32 vcc, 31, v11
	v_cndmask_b32_e32 v7, v0, v7, vcc
	v_cmp_ne_u32_e32 vcc, 0, v3
	v_cndmask_b32_e64 v3, 0, 1, vcc
	v_lshl_or_b32 v3, v3, 9, v0
	v_cmp_eq_u32_e32 vcc, s8, v11
	v_cndmask_b32_e32 v3, v7, v3, vcc
	v_lshrrev_b32_e32 v4, 16, v4
	v_and_or_b32 v7, v4, s9, v3
	v_and_or_b32 v3, v10, s7, v9
	v_cmp_ne_u32_e32 vcc, 0, v3
	v_cndmask_b32_e64 v3, 0, 1, vcc
	v_lshrrev_b32_e32 v4, 8, v10
	v_bfe_u32 v9, v10, 20, 11
	v_and_or_b32 v3, v4, s6, v3
	v_sub_u32_e32 v11, 0x3f1, v9
	v_or_b32_e32 v4, 0x1000, v3
	v_med3_i32 v11, v11, 0, 13
	v_lshrrev_b32_e32 v12, v11, v4
	v_lshlrev_b32_e32 v11, v11, v12
	v_cmp_ne_u32_e32 vcc, v11, v4
	v_cndmask_b32_e64 v4, 0, 1, vcc
	v_add_u32_e32 v9, 0xfffffc10, v9
	v_or_b32_e32 v4, v12, v4
	v_lshl_or_b32 v11, v9, 12, v3
	v_cmp_gt_i32_e32 vcc, 1, v9
	v_cndmask_b32_e32 v4, v11, v4, vcc
	v_and_b32_e32 v11, 7, v4
	v_cmp_lt_i32_e32 vcc, 5, v11
	v_cmp_eq_u32_e64 s[0:1], 3, v11
	v_lshrrev_b32_e32 v4, 2, v4
	s_or_b64 vcc, s[0:1], vcc
	v_addc_co_u32_e32 v4, vcc, 0, v4, vcc
	v_cmp_gt_i32_e32 vcc, 31, v9
	v_lshrrev_b32_e32 v12, 16, v8
	v_cndmask_b32_e32 v11, v0, v4, vcc
	v_mul_f16_sdwa v4, v21, v12 dst_sel:DWORD dst_unused:UNUSED_PAD src0_sel:WORD_1 src1_sel:DWORD
	v_fma_f16 v4, v21, v8, v4
	v_cvt_f32_f16_e32 v4, v4
	v_cmp_ne_u32_e32 vcc, 0, v3
	v_cndmask_b32_e64 v3, 0, 1, vcc
	v_lshl_or_b32 v13, v3, 9, v0
	v_cvt_f64_f32_e32 v[3:4], v4
	v_cmp_eq_u32_e32 vcc, s8, v9
	v_cndmask_b32_e32 v9, v11, v13, vcc
	v_lshrrev_b32_e32 v10, 16, v10
	v_mul_f64 v[3:4], v[3:4], s[2:3]
	v_add_co_u32_e32 v5, vcc, s4, v5
	v_and_or_b32 v9, v10, s9, v9
	v_and_b32_e32 v7, 0xffff, v7
	v_addc_co_u32_e32 v6, vcc, v6, v2, vcc
	v_lshl_or_b32 v7, v9, 16, v7
	v_and_or_b32 v3, v4, s7, v3
	v_cmp_ne_u32_e32 vcc, 0, v3
	global_store_dword v[5:6], v7, off
	v_cndmask_b32_e64 v3, 0, 1, vcc
	v_lshrrev_b32_e32 v7, 8, v4
	v_bfe_u32 v9, v4, 20, 11
	v_and_or_b32 v3, v7, s6, v3
	v_sub_u32_e32 v10, 0x3f1, v9
	v_or_b32_e32 v7, 0x1000, v3
	v_med3_i32 v10, v10, 0, 13
	v_lshrrev_b32_e32 v11, v10, v7
	v_lshlrev_b32_e32 v10, v10, v11
	v_mul_f16_sdwa v8, v21, v8 dst_sel:DWORD dst_unused:UNUSED_PAD src0_sel:WORD_1 src1_sel:DWORD
	v_cmp_ne_u32_e32 vcc, v10, v7
	v_fma_f16 v8, v21, v12, -v8
	v_cndmask_b32_e64 v7, 0, 1, vcc
	v_add_u32_e32 v9, 0xfffffc10, v9
	v_cvt_f32_f16_e32 v8, v8
	v_or_b32_e32 v7, v11, v7
	v_lshl_or_b32 v10, v9, 12, v3
	v_cmp_gt_i32_e32 vcc, 1, v9
	v_cndmask_b32_e32 v7, v10, v7, vcc
	v_and_b32_e32 v10, 7, v7
	v_cmp_lt_i32_e32 vcc, 5, v10
	v_cmp_eq_u32_e64 s[0:1], 3, v10
	v_lshrrev_b32_e32 v10, 2, v7
	v_cvt_f64_f32_e32 v[7:8], v8
	s_or_b64 vcc, s[0:1], vcc
	v_addc_co_u32_e32 v10, vcc, 0, v10, vcc
	v_mul_f64 v[7:8], v[7:8], s[2:3]
	v_cmp_gt_i32_e32 vcc, 31, v9
	v_cndmask_b32_e32 v10, v0, v10, vcc
	v_cmp_ne_u32_e32 vcc, 0, v3
	v_cndmask_b32_e64 v3, 0, 1, vcc
	v_lshl_or_b32 v3, v3, 9, v0
	v_cmp_eq_u32_e32 vcc, s8, v9
	v_cndmask_b32_e32 v3, v10, v3, vcc
	v_lshrrev_b32_e32 v4, 16, v4
	v_and_or_b32 v9, v4, s9, v3
	v_and_or_b32 v3, v8, s7, v7
	v_cmp_ne_u32_e32 vcc, 0, v3
	v_cndmask_b32_e64 v3, 0, 1, vcc
	v_lshrrev_b32_e32 v4, 8, v8
	v_bfe_u32 v7, v8, 20, 11
	v_and_or_b32 v3, v4, s6, v3
	v_sub_u32_e32 v10, 0x3f1, v7
	v_or_b32_e32 v4, 0x1000, v3
	v_med3_i32 v10, v10, 0, 13
	v_lshrrev_b32_e32 v11, v10, v4
	v_lshlrev_b32_e32 v10, v10, v11
	v_cmp_ne_u32_e32 vcc, v10, v4
	v_cndmask_b32_e64 v4, 0, 1, vcc
	v_add_u32_e32 v7, 0xfffffc10, v7
	v_or_b32_e32 v4, v11, v4
	v_lshl_or_b32 v10, v7, 12, v3
	v_cmp_gt_i32_e32 vcc, 1, v7
	v_cndmask_b32_e32 v4, v10, v4, vcc
	v_and_b32_e32 v10, 7, v4
	v_cmp_lt_i32_e32 vcc, 5, v10
	v_cmp_eq_u32_e64 s[0:1], 3, v10
	v_lshrrev_b32_e32 v4, 2, v4
	s_or_b64 vcc, s[0:1], vcc
	v_addc_co_u32_e32 v4, vcc, 0, v4, vcc
	v_cmp_gt_i32_e32 vcc, 31, v7
	v_lshrrev_b32_e32 v11, 16, v1
	v_cndmask_b32_e32 v10, v0, v4, vcc
	v_mul_f16_sdwa v4, v20, v11 dst_sel:DWORD dst_unused:UNUSED_PAD src0_sel:WORD_1 src1_sel:DWORD
	v_fma_f16 v4, v20, v1, v4
	v_cvt_f32_f16_e32 v4, v4
	v_cmp_ne_u32_e32 vcc, 0, v3
	v_cndmask_b32_e64 v3, 0, 1, vcc
	v_lshl_or_b32 v12, v3, 9, v0
	v_cvt_f64_f32_e32 v[3:4], v4
	v_cmp_eq_u32_e32 vcc, s8, v7
	v_cndmask_b32_e32 v7, v10, v12, vcc
	v_lshrrev_b32_e32 v8, 16, v8
	v_mul_f64 v[3:4], v[3:4], s[2:3]
	v_add_co_u32_e32 v5, vcc, s4, v5
	v_and_or_b32 v7, v8, s9, v7
	v_and_b32_e32 v8, 0xffff, v9
	v_addc_co_u32_e32 v6, vcc, v6, v2, vcc
	v_lshl_or_b32 v7, v7, 16, v8
	v_and_or_b32 v3, v4, s7, v3
	v_cmp_ne_u32_e32 vcc, 0, v3
	global_store_dword v[5:6], v7, off
	v_cndmask_b32_e64 v3, 0, 1, vcc
	v_lshrrev_b32_e32 v7, 8, v4
	v_bfe_u32 v8, v4, 20, 11
	v_and_or_b32 v3, v7, s6, v3
	v_sub_u32_e32 v9, 0x3f1, v8
	v_or_b32_e32 v7, 0x1000, v3
	v_med3_i32 v9, v9, 0, 13
	v_lshrrev_b32_e32 v10, v9, v7
	v_lshlrev_b32_e32 v9, v9, v10
	v_mul_f16_sdwa v1, v20, v1 dst_sel:DWORD dst_unused:UNUSED_PAD src0_sel:WORD_1 src1_sel:DWORD
	v_cmp_ne_u32_e32 vcc, v9, v7
	v_fma_f16 v1, v20, v11, -v1
	v_cndmask_b32_e64 v7, 0, 1, vcc
	v_add_u32_e32 v9, 0xfffffc10, v8
	v_cvt_f32_f16_e32 v1, v1
	v_or_b32_e32 v7, v10, v7
	v_lshl_or_b32 v8, v9, 12, v3
	v_cmp_gt_i32_e32 vcc, 1, v9
	v_cndmask_b32_e32 v7, v8, v7, vcc
	v_and_b32_e32 v8, 7, v7
	v_cmp_lt_i32_e32 vcc, 5, v8
	v_cmp_eq_u32_e64 s[0:1], 3, v8
	v_lshrrev_b32_e32 v10, 2, v7
	v_cvt_f64_f32_e32 v[7:8], v1
	s_or_b64 vcc, s[0:1], vcc
	v_addc_co_u32_e32 v1, vcc, 0, v10, vcc
	v_mul_f64 v[7:8], v[7:8], s[2:3]
	v_cmp_gt_i32_e32 vcc, 31, v9
	v_cndmask_b32_e32 v1, v0, v1, vcc
	v_cmp_ne_u32_e32 vcc, 0, v3
	v_cndmask_b32_e64 v3, 0, 1, vcc
	v_lshl_or_b32 v3, v3, 9, v0
	v_cmp_eq_u32_e32 vcc, s8, v9
	v_cndmask_b32_e32 v1, v1, v3, vcc
	v_lshrrev_b32_e32 v3, 16, v4
	v_and_or_b32 v1, v3, s9, v1
	v_and_or_b32 v3, v8, s7, v7
	v_cmp_ne_u32_e32 vcc, 0, v3
	v_cndmask_b32_e64 v3, 0, 1, vcc
	v_lshrrev_b32_e32 v4, 8, v8
	v_bfe_u32 v7, v8, 20, 11
	v_and_or_b32 v3, v4, s6, v3
	v_sub_u32_e32 v9, 0x3f1, v7
	v_or_b32_e32 v4, 0x1000, v3
	v_med3_i32 v9, v9, 0, 13
	v_lshrrev_b32_e32 v10, v9, v4
	v_lshlrev_b32_e32 v9, v9, v10
	v_cmp_ne_u32_e32 vcc, v9, v4
	v_cndmask_b32_e64 v4, 0, 1, vcc
	v_add_u32_e32 v7, 0xfffffc10, v7
	v_or_b32_e32 v4, v10, v4
	v_lshl_or_b32 v9, v7, 12, v3
	v_cmp_gt_i32_e32 vcc, 1, v7
	v_cndmask_b32_e32 v4, v9, v4, vcc
	v_and_b32_e32 v9, 7, v4
	v_cmp_lt_i32_e32 vcc, 5, v9
	v_cmp_eq_u32_e64 s[0:1], 3, v9
	v_lshrrev_b32_e32 v4, 2, v4
	s_or_b64 vcc, s[0:1], vcc
	v_addc_co_u32_e32 v4, vcc, 0, v4, vcc
	v_cmp_gt_i32_e32 vcc, 31, v7
	v_cndmask_b32_e32 v4, v0, v4, vcc
	v_cmp_ne_u32_e32 vcc, 0, v3
	v_cndmask_b32_e64 v3, 0, 1, vcc
	v_lshl_or_b32 v0, v3, 9, v0
	v_cmp_eq_u32_e32 vcc, s8, v7
	v_cndmask_b32_e32 v0, v4, v0, vcc
	v_lshrrev_b32_e32 v3, 16, v8
	v_and_or_b32 v0, v3, s9, v0
	v_and_b32_e32 v1, 0xffff, v1
	v_lshl_or_b32 v3, v0, 16, v1
	v_add_co_u32_e32 v0, vcc, s4, v5
	v_addc_co_u32_e32 v1, vcc, v6, v2, vcc
	global_store_dword v[0:1], v3, off
.LBB0_10:
	s_endpgm
	.section	.rodata,"a",@progbits
	.p2align	6, 0x0
	.amdhsa_kernel bluestein_single_back_len44_dim1_half_op_CI_CI
		.amdhsa_group_segment_fixed_size 2816
		.amdhsa_private_segment_fixed_size 0
		.amdhsa_kernarg_size 104
		.amdhsa_user_sgpr_count 6
		.amdhsa_user_sgpr_private_segment_buffer 1
		.amdhsa_user_sgpr_dispatch_ptr 0
		.amdhsa_user_sgpr_queue_ptr 0
		.amdhsa_user_sgpr_kernarg_segment_ptr 1
		.amdhsa_user_sgpr_dispatch_id 0
		.amdhsa_user_sgpr_flat_scratch_init 0
		.amdhsa_user_sgpr_private_segment_size 0
		.amdhsa_uses_dynamic_stack 0
		.amdhsa_system_sgpr_private_segment_wavefront_offset 0
		.amdhsa_system_sgpr_workgroup_id_x 1
		.amdhsa_system_sgpr_workgroup_id_y 0
		.amdhsa_system_sgpr_workgroup_id_z 0
		.amdhsa_system_sgpr_workgroup_info 0
		.amdhsa_system_vgpr_workitem_id 0
		.amdhsa_next_free_vgpr 69
		.amdhsa_next_free_sgpr 22
		.amdhsa_reserve_vcc 1
		.amdhsa_reserve_flat_scratch 0
		.amdhsa_float_round_mode_32 0
		.amdhsa_float_round_mode_16_64 0
		.amdhsa_float_denorm_mode_32 3
		.amdhsa_float_denorm_mode_16_64 3
		.amdhsa_dx10_clamp 1
		.amdhsa_ieee_mode 1
		.amdhsa_fp16_overflow 0
		.amdhsa_exception_fp_ieee_invalid_op 0
		.amdhsa_exception_fp_denorm_src 0
		.amdhsa_exception_fp_ieee_div_zero 0
		.amdhsa_exception_fp_ieee_overflow 0
		.amdhsa_exception_fp_ieee_underflow 0
		.amdhsa_exception_fp_ieee_inexact 0
		.amdhsa_exception_int_div_zero 0
	.end_amdhsa_kernel
	.text
.Lfunc_end0:
	.size	bluestein_single_back_len44_dim1_half_op_CI_CI, .Lfunc_end0-bluestein_single_back_len44_dim1_half_op_CI_CI
                                        ; -- End function
	.section	.AMDGPU.csdata,"",@progbits
; Kernel info:
; codeLenInByte = 13352
; NumSgprs: 26
; NumVgprs: 69
; ScratchSize: 0
; MemoryBound: 0
; FloatMode: 240
; IeeeMode: 1
; LDSByteSize: 2816 bytes/workgroup (compile time only)
; SGPRBlocks: 3
; VGPRBlocks: 17
; NumSGPRsForWavesPerEU: 26
; NumVGPRsForWavesPerEU: 69
; Occupancy: 3
; WaveLimiterHint : 1
; COMPUTE_PGM_RSRC2:SCRATCH_EN: 0
; COMPUTE_PGM_RSRC2:USER_SGPR: 6
; COMPUTE_PGM_RSRC2:TRAP_HANDLER: 0
; COMPUTE_PGM_RSRC2:TGID_X_EN: 1
; COMPUTE_PGM_RSRC2:TGID_Y_EN: 0
; COMPUTE_PGM_RSRC2:TGID_Z_EN: 0
; COMPUTE_PGM_RSRC2:TIDIG_COMP_CNT: 0
	.type	__hip_cuid_871a5abaa62eb850,@object ; @__hip_cuid_871a5abaa62eb850
	.section	.bss,"aw",@nobits
	.globl	__hip_cuid_871a5abaa62eb850
__hip_cuid_871a5abaa62eb850:
	.byte	0                               ; 0x0
	.size	__hip_cuid_871a5abaa62eb850, 1

	.ident	"AMD clang version 19.0.0git (https://github.com/RadeonOpenCompute/llvm-project roc-6.4.0 25133 c7fe45cf4b819c5991fe208aaa96edf142730f1d)"
	.section	".note.GNU-stack","",@progbits
	.addrsig
	.addrsig_sym __hip_cuid_871a5abaa62eb850
	.amdgpu_metadata
---
amdhsa.kernels:
  - .args:
      - .actual_access:  read_only
        .address_space:  global
        .offset:         0
        .size:           8
        .value_kind:     global_buffer
      - .actual_access:  read_only
        .address_space:  global
        .offset:         8
        .size:           8
        .value_kind:     global_buffer
      - .actual_access:  read_only
        .address_space:  global
        .offset:         16
        .size:           8
        .value_kind:     global_buffer
      - .actual_access:  read_only
        .address_space:  global
        .offset:         24
        .size:           8
        .value_kind:     global_buffer
      - .actual_access:  read_only
        .address_space:  global
        .offset:         32
        .size:           8
        .value_kind:     global_buffer
      - .offset:         40
        .size:           8
        .value_kind:     by_value
      - .address_space:  global
        .offset:         48
        .size:           8
        .value_kind:     global_buffer
      - .address_space:  global
        .offset:         56
        .size:           8
        .value_kind:     global_buffer
      - .address_space:  global
        .offset:         64
        .size:           8
        .value_kind:     global_buffer
      - .address_space:  global
        .offset:         72
        .size:           8
        .value_kind:     global_buffer
      - .offset:         80
        .size:           4
        .value_kind:     by_value
      - .address_space:  global
        .offset:         88
        .size:           8
        .value_kind:     global_buffer
      - .address_space:  global
        .offset:         96
        .size:           8
        .value_kind:     global_buffer
    .group_segment_fixed_size: 2816
    .kernarg_segment_align: 8
    .kernarg_segment_size: 104
    .language:       OpenCL C
    .language_version:
      - 2
      - 0
    .max_flat_workgroup_size: 64
    .name:           bluestein_single_back_len44_dim1_half_op_CI_CI
    .private_segment_fixed_size: 0
    .sgpr_count:     26
    .sgpr_spill_count: 0
    .symbol:         bluestein_single_back_len44_dim1_half_op_CI_CI.kd
    .uniform_work_group_size: 1
    .uses_dynamic_stack: false
    .vgpr_count:     69
    .vgpr_spill_count: 0
    .wavefront_size: 64
amdhsa.target:   amdgcn-amd-amdhsa--gfx906
amdhsa.version:
  - 1
  - 2
...

	.end_amdgpu_metadata
